;; amdgpu-corpus repo=ROCm/rocFFT kind=compiled arch=gfx950 opt=O3
	.text
	.amdgcn_target "amdgcn-amd-amdhsa--gfx950"
	.amdhsa_code_object_version 6
	.protected	bluestein_single_fwd_len945_dim1_sp_op_CI_CI ; -- Begin function bluestein_single_fwd_len945_dim1_sp_op_CI_CI
	.globl	bluestein_single_fwd_len945_dim1_sp_op_CI_CI
	.p2align	8
	.type	bluestein_single_fwd_len945_dim1_sp_op_CI_CI,@function
bluestein_single_fwd_len945_dim1_sp_op_CI_CI: ; @bluestein_single_fwd_len945_dim1_sp_op_CI_CI
; %bb.0:
	s_load_dwordx4 s[12:15], s[0:1], 0x28
	v_mul_u32_u24_e32 v1, 0x411, v0
	v_add_u32_sdwa v84, s2, v1 dst_sel:DWORD dst_unused:UNUSED_PAD src0_sel:DWORD src1_sel:WORD_1
	v_mov_b32_e32 v85, 0
	s_waitcnt lgkmcnt(0)
	v_cmp_gt_u64_e32 vcc, s[12:13], v[84:85]
	s_and_saveexec_b64 s[2:3], vcc
	s_cbranch_execz .LBB0_10
; %bb.1:
	s_load_dwordx4 s[4:7], s[0:1], 0x18
	s_load_dwordx4 s[8:11], s[0:1], 0x0
	v_mov_b32_e32 v2, s14
	v_mov_b32_e32 v3, s15
	;; [unrolled: 1-line block ×3, first 2 shown]
	s_waitcnt lgkmcnt(0)
	s_load_dwordx4 s[12:15], s[4:5], 0x0
	v_mul_lo_u16_sdwa v1, v1, v4 dst_sel:DWORD dst_unused:UNUSED_PAD src0_sel:WORD_1 src1_sel:DWORD
	v_sub_u16_e32 v166, v0, v1
	v_mov_b32_e32 v32, 0x9d8
	v_lshlrev_b32_e32 v140, 3, v166
	s_waitcnt lgkmcnt(0)
	v_mad_u64_u32 v[0:1], s[2:3], s14, v84, 0
	v_mov_b32_e32 v4, v1
	v_mad_u64_u32 v[4:5], s[2:3], s15, v84, v[4:5]
	v_mov_b32_e32 v1, v4
	v_mad_u64_u32 v[4:5], s[2:3], s12, v166, 0
	v_mov_b32_e32 v6, v5
	v_mad_u64_u32 v[6:7], s[2:3], s13, v166, v[6:7]
	v_mov_b32_e32 v5, v6
	v_lshl_add_u64 v[0:1], v[0:1], 3, v[2:3]
	v_lshl_add_u64 v[0:1], v[4:5], 3, v[0:1]
	global_load_dwordx2 v[2:3], v[0:1], off
	v_mad_u64_u32 v[0:1], s[2:3], s12, v32, v[0:1]
	s_mul_i32 s4, s13, 0x9d8
	v_add_u32_e32 v1, s4, v1
	v_mov_b32_e32 v141, v85
	v_mad_u64_u32 v[6:7], s[2:3], s12, v32, v[0:1]
	v_lshl_add_u64 v[4:5], s[8:9], 0, v[140:141]
	s_movk_i32 s2, 0x1000
	global_load_dwordx2 v[174:175], v140, s[8:9]
	global_load_dwordx2 v[172:173], v140, s[8:9] offset:2520
	v_add_u32_e32 v7, s4, v7
	global_load_dwordx2 v[8:9], v[0:1], off
	global_load_dwordx2 v[10:11], v[6:7], off
	v_add_co_u32_e32 v0, vcc, s2, v4
	v_mov_b32_e32 v28, 0xffffee48
	s_nop 0
	v_addc_co_u32_e32 v1, vcc, 0, v5, vcc
	v_mad_u64_u32 v[4:5], s[2:3], s12, v28, v[6:7]
	s_mul_i32 s2, s13, 0xffffee48
	s_sub_i32 s5, s2, s12
	v_add_u32_e32 v5, s5, v5
	v_mad_u64_u32 v[6:7], s[2:3], s12, v32, v[4:5]
	v_add_u32_e32 v7, s4, v7
	global_load_dwordx2 v[168:169], v[0:1], off offset:944
	global_load_dwordx2 v[170:171], v140, s[8:9] offset:504
	global_load_dwordx2 v[12:13], v[4:5], off
	global_load_dwordx2 v[14:15], v[6:7], off
	global_load_dwordx2 v[162:163], v140, s[8:9] offset:3024
	v_mad_u64_u32 v[4:5], s[2:3], s12, v32, v[6:7]
	v_add_u32_e32 v5, s4, v5
	global_load_dwordx2 v[6:7], v[4:5], off
	global_load_dwordx2 v[160:161], v[0:1], off offset:1448
	v_mad_u64_u32 v[4:5], s[2:3], s12, v28, v[4:5]
	v_add_u32_e32 v5, s5, v5
	global_load_dwordx2 v[16:17], v[4:5], off
	global_load_dwordx2 v[158:159], v140, s[8:9] offset:1008
	v_mad_u64_u32 v[4:5], s[2:3], s12, v32, v[4:5]
	v_add_u32_e32 v5, s4, v5
	global_load_dwordx2 v[18:19], v[4:5], off
	global_load_dwordx2 v[156:157], v140, s[8:9] offset:3528
	v_mad_u64_u32 v[4:5], s[2:3], s12, v32, v[4:5]
	v_add_u32_e32 v5, s4, v5
	global_load_dwordx2 v[20:21], v[4:5], off
	global_load_dwordx2 v[154:155], v[0:1], off offset:1952
	v_mad_u64_u32 v[4:5], s[2:3], s12, v28, v[4:5]
	v_add_u32_e32 v5, s5, v5
	global_load_dwordx2 v[22:23], v[4:5], off
	global_load_dwordx2 v[152:153], v140, s[8:9] offset:1512
	v_mad_u64_u32 v[4:5], s[2:3], s12, v32, v[4:5]
	v_add_u32_e32 v5, s4, v5
	;; [unrolled: 12-line block ×3, first 2 shown]
	global_load_dwordx2 v[30:31], v[4:5], off
	global_load_dwordx2 v[144:145], v[0:1], off offset:440
	v_mad_u64_u32 v[4:5], s[2:3], s12, v32, v[4:5]
	v_add_u32_e32 v5, s4, v5
	global_load_dwordx2 v[32:33], v[4:5], off
	global_load_dwordx2 v[142:143], v[0:1], off offset:2960
	v_add_u32_e32 v64, 0x800, v140
	v_add_u32_e32 v66, 0x1000, v140
	;; [unrolled: 1-line block ×4, first 2 shown]
	s_load_dwordx4 s[4:7], s[6:7], 0x0
	v_add_u32_e32 v71, 0x400, v140
	s_mov_b32 s2, 0x3f5db3d7
	v_add_u32_e32 v70, 0x1400, v140
	s_mov_b64 s[12:13], 0x7e
	v_accvgpr_write_b32 a0, v84
	s_mov_b32 s14, 0x3e9e377a
	v_cmp_gt_u16_e32 vcc, 9, v166
                                        ; implicit-def: $vgpr246
                                        ; implicit-def: $vgpr244
                                        ; implicit-def: $vgpr240
                                        ; implicit-def: $vgpr242
                                        ; implicit-def: $vgpr250
                                        ; implicit-def: $vgpr252
                                        ; implicit-def: $vgpr248
                                        ; implicit-def: $vgpr130
	s_waitcnt vmcnt(28)
	v_mul_f32_e32 v0, v3, v175
	v_mul_f32_e32 v1, v2, v175
	v_fmac_f32_e32 v0, v2, v174
	v_fma_f32 v1, v3, v174, -v1
	s_waitcnt vmcnt(26)
	v_mul_f32_e32 v2, v9, v173
	v_mul_f32_e32 v3, v8, v173
	v_fmac_f32_e32 v2, v8, v172
	v_fma_f32 v3, v9, v172, -v3
	ds_write_b64 v140, v[2:3] offset:2520
	s_waitcnt vmcnt(24)
	v_mul_f32_e32 v2, v11, v169
	v_mul_f32_e32 v3, v10, v169
	v_fmac_f32_e32 v2, v10, v168
	v_fma_f32 v3, v11, v168, -v3
	ds_write_b64 v140, v[2:3] offset:5040
	s_waitcnt vmcnt(22)
	v_mul_f32_e32 v2, v13, v171
	v_mul_f32_e32 v3, v12, v171
	v_fmac_f32_e32 v2, v12, v170
	v_fma_f32 v3, v13, v170, -v3
	ds_write2_b64 v140, v[0:1], v[2:3] offset1:63
	s_waitcnt vmcnt(18)
	v_mul_f32_e32 v2, v7, v161
	v_mul_f32_e32 v3, v6, v161
	;; [unrolled: 1-line block ×4, first 2 shown]
	v_fmac_f32_e32 v2, v6, v160
	v_fma_f32 v3, v7, v160, -v3
	s_waitcnt vmcnt(14)
	v_mul_f32_e32 v6, v19, v157
	v_mul_f32_e32 v7, v18, v157
	v_fmac_f32_e32 v0, v14, v162
	v_fma_f32 v1, v15, v162, -v1
	v_fmac_f32_e32 v6, v18, v156
	v_fma_f32 v7, v19, v156, -v7
	ds_write2_b64 v64, v[0:1], v[6:7] offset0:122 offset1:185
	s_waitcnt vmcnt(12)
	v_mul_f32_e32 v0, v21, v155
	v_mul_f32_e32 v1, v20, v155
	v_fmac_f32_e32 v0, v20, v154
	v_fma_f32 v1, v21, v154, -v1
	v_mul_f32_e32 v4, v17, v159
	v_mul_f32_e32 v5, v16, v159
	ds_write2_b64 v66, v[2:3], v[0:1] offset0:181 offset1:244
	s_waitcnt vmcnt(10)
	v_mul_f32_e32 v0, v23, v153
	v_mul_f32_e32 v1, v22, v153
	v_fmac_f32_e32 v4, v16, v158
	v_fma_f32 v5, v17, v158, -v5
	v_fmac_f32_e32 v0, v22, v152
	v_fma_f32 v1, v23, v152, -v1
	ds_write2_b64 v140, v[4:5], v[0:1] offset0:126 offset1:189
	s_waitcnt vmcnt(4)
	v_mul_f32_e32 v4, v29, v147
	v_mul_f32_e32 v5, v28, v147
	v_fmac_f32_e32 v4, v28, v146
	v_fma_f32 v5, v29, v146, -v5
	v_mul_f32_e32 v0, v25, v151
	v_mul_f32_e32 v1, v24, v151
	ds_write_b64 v140, v[4:5] offset:2016
	s_waitcnt vmcnt(2)
	v_mul_f32_e32 v4, v31, v145
	v_mul_f32_e32 v5, v30, v145
	v_fmac_f32_e32 v0, v24, v150
	v_fma_f32 v1, v25, v150, -v1
	v_fmac_f32_e32 v4, v30, v144
	v_fma_f32 v5, v31, v144, -v5
	v_mul_f32_e32 v2, v27, v149
	v_mul_f32_e32 v3, v26, v149
	ds_write2_b64 v65, v[0:1], v[4:5] offset0:120 offset1:183
	s_waitcnt vmcnt(0)
	v_mul_f32_e32 v0, v33, v143
	v_mul_f32_e32 v1, v32, v143
	v_fmac_f32_e32 v2, v26, v148
	v_fma_f32 v3, v27, v148, -v3
	v_fmac_f32_e32 v0, v32, v142
	v_fma_f32 v1, v33, v142, -v1
	ds_write2_b64 v67, v[2:3], v[0:1] offset0:51 offset1:114
	v_mul_lo_u16_e32 v0, 3, v166
	s_waitcnt lgkmcnt(0)
	; wave barrier
	s_waitcnt lgkmcnt(0)
	v_lshlrev_b32_e32 v34, 3, v0
	ds_read2_b64 v[0:3], v140 offset1:63
	ds_read2_b64 v[4:7], v64 offset0:122 offset1:185
	ds_read2_b64 v[8:11], v66 offset0:118 offset1:181
	;; [unrolled: 1-line block ×5, first 2 shown]
	ds_read_b64 v[30:31], v140 offset:7056
	v_accvgpr_write_b32 a1, v34
	s_waitcnt lgkmcnt(3)
	v_pk_add_f32 v[24:25], v[14:15], v[8:9]
	v_pk_add_f32 v[26:27], v[14:15], v[8:9] neg_lo:[0,1] neg_hi:[0,1]
	v_pk_fma_f32 v[24:25], v[24:25], 0.5, v[0:1] op_sel_hi:[1,0,1] neg_lo:[1,0,0] neg_hi:[1,0,0]
	v_pk_mul_f32 v[26:27], v[26:27], s[2:3] op_sel_hi:[1,0]
	v_pk_add_f32 v[0:1], v[0:1], v[14:15]
	v_pk_add_f32 v[32:33], v[24:25], v[26:27] op_sel:[0,1] op_sel_hi:[1,0]
	v_pk_add_f32 v[24:25], v[24:25], v[26:27] op_sel:[0,1] op_sel_hi:[1,0] neg_lo:[0,1] neg_hi:[0,1]
	v_pk_add_f32 v[0:1], v[0:1], v[8:9]
	v_mov_b32_e32 v8, v32
	v_mov_b32_e32 v9, v25
	ds_read2_b64 v[26:29], v65 offset0:120 offset1:183
	s_waitcnt lgkmcnt(0)
	; wave barrier
	s_waitcnt lgkmcnt(0)
	ds_write2_b64 v34, v[0:1], v[8:9] offset1:1
	v_pk_add_f32 v[0:1], v[4:5], v[10:11]
	v_mov_b32_e32 v25, v33
	v_pk_fma_f32 v[0:1], v[0:1], 0.5, v[2:3] op_sel_hi:[1,0,1] neg_lo:[1,0,0] neg_hi:[1,0,0]
	v_pk_add_f32 v[2:3], v[2:3], v[4:5]
	v_pk_add_f32 v[4:5], v[4:5], v[10:11] neg_lo:[0,1] neg_hi:[0,1]
	v_pk_add_f32 v[2:3], v[2:3], v[10:11]
	v_pk_mul_f32 v[4:5], v[4:5], s[2:3] op_sel_hi:[1,0]
	s_mov_b32 s3, 0
	v_mov_b32_e32 v167, s3
	v_lshl_add_u64 v[40:41], v[166:167], 0, 63
	v_pk_add_f32 v[8:9], v[0:1], v[4:5] op_sel:[0,1] op_sel_hi:[1,0]
	v_pk_add_f32 v[0:1], v[0:1], v[4:5] op_sel:[0,1] op_sel_hi:[1,0] neg_lo:[0,1] neg_hi:[0,1]
	v_mul_u32_u24_e32 v4, 3, v40
	v_lshlrev_b32_e32 v14, 3, v4
	v_mov_b32_e32 v4, v8
	v_mov_b32_e32 v5, v1
	ds_write_b64 v34, v[24:25] offset:16
	ds_write2_b64 v14, v[2:3], v[4:5] offset1:1
	v_pk_add_f32 v[2:3], v[16:17], v[6:7]
	v_pk_add_f32 v[4:5], v[6:7], v[20:21]
	v_pk_add_f32 v[6:7], v[6:7], v[20:21] neg_lo:[0,1] neg_hi:[0,1]
	v_pk_fma_f32 v[4:5], v[4:5], 0.5, v[16:17] op_sel_hi:[1,0,1] neg_lo:[1,0,0] neg_hi:[1,0,0]
	v_pk_mul_f32 v[6:7], v[6:7], s[2:3] op_sel_hi:[1,0]
	v_lshl_add_u64 v[68:69], v[166:167], 0, s[12:13]
	v_pk_add_f32 v[10:11], v[4:5], v[6:7] op_sel:[0,1] op_sel_hi:[1,0]
	v_pk_add_f32 v[4:5], v[4:5], v[6:7] op_sel:[0,1] op_sel_hi:[1,0] neg_lo:[0,1] neg_hi:[0,1]
	s_mov_b64 s[12:13], 0xbd
	v_mov_b32_e32 v1, v9
	v_mul_u32_u24_e32 v6, 3, v68
	v_lshlrev_b32_e32 v15, 3, v6
	v_pk_add_f32 v[2:3], v[2:3], v[20:21]
	ds_write_b64 v14, v[0:1] offset:16
	v_mov_b32_e32 v0, v10
	v_mov_b32_e32 v1, v5
	v_lshl_add_u64 v[24:25], v[166:167], 0, s[12:13]
	s_mov_b64 s[12:13], 0xfc
	ds_write2_b64 v15, v[2:3], v[0:1] offset1:1
	v_pk_add_f32 v[0:1], v[26:27], v[22:23]
	v_lshl_add_u64 v[20:21], v[166:167], 0, s[12:13]
	v_mul_u32_u24_e32 v5, 3, v24
	v_pk_add_f32 v[6:7], v[26:27], v[22:23] neg_lo:[0,1] neg_hi:[0,1]
	v_accvgpr_write_b32 a2, v14
	v_pk_fma_f32 v[0:1], v[0:1], 0.5, v[18:19] op_sel_hi:[1,0,1] neg_lo:[1,0,0] neg_hi:[1,0,0]
	v_lshlrev_b32_e32 v14, 3, v5
	v_pk_mul_f32 v[6:7], v[6:7], s[2:3] op_sel_hi:[1,0]
	v_mul_u32_u24_e32 v5, 3, v20
	v_pk_add_f32 v[2:3], v[18:19], v[26:27]
	v_pk_add_f32 v[8:9], v[0:1], v[6:7] op_sel:[0,1] op_sel_hi:[1,0]
	v_pk_add_f32 v[0:1], v[0:1], v[6:7] op_sel:[0,1] op_sel_hi:[1,0] neg_lo:[0,1] neg_hi:[0,1]
	v_lshlrev_b32_e32 v10, 3, v5
	v_mov_b32_e32 v5, v11
	v_pk_add_f32 v[2:3], v[2:3], v[22:23]
	ds_write_b64 v15, v[4:5] offset:16
	v_mov_b32_e32 v4, v8
	v_mov_b32_e32 v5, v1
	;; [unrolled: 1-line block ×3, first 2 shown]
	ds_write2_b64 v14, v[2:3], v[4:5] offset1:1
	ds_write_b64 v14, v[0:1] offset:16
	v_pk_add_f32 v[0:1], v[28:29], v[30:31]
	v_pk_add_f32 v[2:3], v[28:29], v[30:31] neg_lo:[0,1] neg_hi:[0,1]
	v_pk_fma_f32 v[0:1], v[0:1], 0.5, v[12:13] op_sel_hi:[1,0,1] neg_lo:[1,0,0] neg_hi:[1,0,0]
	v_pk_mul_f32 v[2:3], v[2:3], s[2:3] op_sel_hi:[1,0]
	s_mov_b32 s12, 0xaaab
	v_pk_add_f32 v[4:5], v[0:1], v[2:3] op_sel:[0,1] op_sel_hi:[1,0]
	v_pk_add_f32 v[0:1], v[0:1], v[2:3] op_sel:[0,1] op_sel_hi:[1,0] neg_lo:[0,1] neg_hi:[0,1]
	v_pk_add_f32 v[6:7], v[12:13], v[28:29]
	v_mov_b32_e32 v3, v1
	v_mov_b32_e32 v1, v5
	ds_write_b64 v10, v[0:1] offset:16
	v_mul_u32_u24_sdwa v1, v20, s12 dst_sel:DWORD dst_unused:UNUSED_PAD src0_sel:WORD_0 src1_sel:DWORD
	v_lshrrev_b32_e32 v25, 17, v1
	v_mul_lo_u16_e32 v1, 3, v25
	v_sub_u16_e32 v41, v20, v1
	s_movk_i32 s3, 0xab
	v_lshlrev_b16_e32 v1, 1, v41
	v_pk_add_f32 v[6:7], v[6:7], v[30:31]
	v_mov_b32_e32 v2, v4
	v_mul_lo_u16_sdwa v0, v24, s3 dst_sel:DWORD dst_unused:UNUSED_PAD src0_sel:BYTE_0 src1_sel:DWORD
	v_lshlrev_b32_e32 v1, 3, v1
	v_mul_lo_u16_sdwa v12, v40, s3 dst_sel:DWORD dst_unused:UNUSED_PAD src0_sel:BYTE_0 src1_sel:DWORD
	ds_write2_b64 v10, v[6:7], v[2:3] offset1:1
	s_waitcnt lgkmcnt(0)
	; wave barrier
	s_waitcnt lgkmcnt(0)
	v_lshrrev_b16_e32 v21, 9, v0
	global_load_dwordx4 v[4:7], v1, s[10:11]
	v_lshrrev_b16_e32 v82, 9, v12
	v_mul_lo_u16_e32 v0, 3, v21
	v_mul_lo_u16_e32 v12, 3, v82
	v_sub_u16_e32 v0, v24, v0
	v_sub_u16_e32 v12, v40, v12
	v_and_b32_e32 v69, 0xff, v0
	v_and_b32_e32 v83, 0xff, v12
	v_lshlrev_b32_e32 v0, 4, v69
	v_mul_lo_u16_sdwa v8, v68, s3 dst_sel:DWORD dst_unused:UNUSED_PAD src0_sel:BYTE_0 src1_sel:DWORD
	v_lshlrev_b32_e32 v12, 4, v83
	v_accvgpr_write_b32 a4, v15
	v_accvgpr_write_b32 a5, v14
	global_load_dwordx4 v[12:15], v12, s[10:11]
	v_lshrrev_b16_e32 v80, 9, v8
	global_load_dwordx4 v[0:3], v0, s[10:11]
	v_mul_lo_u16_e32 v8, 3, v80
	v_sub_u16_e32 v8, v68, v8
	v_and_b32_e32 v81, 0xff, v8
	v_lshlrev_b32_e32 v8, 4, v81
	v_accvgpr_write_b32 a3, v10
	global_load_dwordx4 v[8:11], v8, s[10:11]
	v_mul_lo_u16_sdwa v16, v166, s3 dst_sel:DWORD dst_unused:UNUSED_PAD src0_sel:BYTE_0 src1_sel:DWORD
	v_lshrrev_b16_e32 v78, 9, v16
	v_mul_lo_u16_e32 v16, 3, v78
	v_sub_u16_e32 v16, v166, v16
	v_and_b32_e32 v79, 0xff, v16
	v_lshlrev_b32_e32 v16, 4, v79
	global_load_dwordx4 v[16:19], v16, s[10:11]
	ds_read2_b64 v[26:29], v65 offset0:120 offset1:183
	s_mov_b32 s12, 0x3f167918
	s_waitcnt vmcnt(4) lgkmcnt(0)
	v_pk_mul_f32 v[22:23], v[28:29], v[4:5] op_sel:[0,1]
	s_nop 0
	v_pk_fma_f32 v[36:37], v[28:29], v[4:5], v[22:23] op_sel:[0,0,1] op_sel_hi:[1,1,0] neg_lo:[0,0,1] neg_hi:[0,0,1]
	v_pk_fma_f32 v[22:23], v[28:29], v[4:5], v[22:23] op_sel:[0,0,1] op_sel_hi:[1,0,0]
	ds_read2_b64 v[28:31], v70 offset0:116 offset1:179
	v_mov_b32_e32 v37, v23
	v_accvgpr_write_b32 a16, v7
	v_mov_b32_e32 v238, v5
	s_waitcnt vmcnt(3)
	v_accvgpr_write_b32 a6, v15
	v_mov_b32_e32 v232, v13
	s_waitcnt vmcnt(2)
	v_pk_mul_f32 v[32:33], v[26:27], v[0:1] op_sel:[0,1]
	v_mov_b32_e32 v22, v3
	v_pk_fma_f32 v[38:39], v[26:27], v[0:1], v[32:33] op_sel:[0,0,1] op_sel_hi:[1,1,0] neg_lo:[0,0,1] neg_hi:[0,0,1]
	v_pk_fma_f32 v[42:43], v[26:27], v[0:1], v[32:33] op_sel:[0,0,1] op_sel_hi:[1,0,0]
	s_waitcnt lgkmcnt(0)
	v_pk_mul_f32 v[26:27], v[30:31], v[22:23] op_sel_hi:[1,0]
	v_accvgpr_write_b32 a12, v3
	v_pk_fma_f32 v[44:45], v[30:31], v[2:3], v[26:27] op_sel:[0,0,1] op_sel_hi:[1,1,0] neg_lo:[0,0,1] neg_hi:[0,0,1]
	v_pk_fma_f32 v[46:47], v[30:31], v[2:3], v[26:27] op_sel:[0,0,1] op_sel_hi:[1,0,0]
	ds_read2_b64 v[30:33], v64 offset0:122 offset1:185
	s_waitcnt vmcnt(1)
	v_mov_b32_e32 v22, v11
	v_pk_mul_f32 v[26:27], v[28:29], v[22:23] op_sel_hi:[1,0]
	v_mov_b32_e32 v22, v15
	v_pk_fma_f32 v[48:49], v[28:29], v[10:11], v[26:27] op_sel:[0,0,1] op_sel_hi:[1,1,0] neg_lo:[0,0,1] neg_hi:[0,0,1]
	v_pk_fma_f32 v[50:51], v[28:29], v[10:11], v[26:27] op_sel:[0,0,1] op_sel_hi:[1,0,0]
	s_waitcnt lgkmcnt(0)
	v_pk_mul_f32 v[26:27], v[32:33], v[8:9] op_sel:[0,1]
	v_mul_u32_u24_e32 v3, 9, v78
	v_pk_fma_f32 v[52:53], v[32:33], v[8:9], v[26:27] op_sel:[0,0,1] op_sel_hi:[1,1,0] neg_lo:[0,0,1] neg_hi:[0,0,1]
	v_pk_fma_f32 v[54:55], v[32:33], v[8:9], v[26:27] op_sel:[0,0,1] op_sel_hi:[1,0,0]
	ds_read2_b64 v[26:29], v66 offset0:118 offset1:181
	v_pk_mul_f32 v[32:33], v[30:31], v[12:13] op_sel:[0,1]
	v_add_lshl_u32 v3, v3, v79, 3
	v_pk_fma_f32 v[56:57], v[30:31], v[12:13], v[32:33] op_sel:[0,0,1] op_sel_hi:[1,1,0] neg_lo:[0,0,1] neg_hi:[0,0,1]
	v_pk_fma_f32 v[58:59], v[30:31], v[12:13], v[32:33] op_sel:[0,0,1] op_sel_hi:[1,0,0]
	s_waitcnt lgkmcnt(0)
	v_pk_mul_f32 v[30:31], v[28:29], v[22:23] op_sel_hi:[1,0]
	s_waitcnt vmcnt(0)
	v_mov_b32_e32 v22, v19
	v_pk_fma_f32 v[60:61], v[28:29], v[14:15], v[30:31] op_sel:[0,0,1] op_sel_hi:[1,1,0] neg_lo:[0,0,1] neg_hi:[0,0,1]
	v_pk_fma_f32 v[62:63], v[28:29], v[14:15], v[30:31] op_sel:[0,0,1] op_sel_hi:[1,0,0]
	ds_read2_b64 v[28:31], v71 offset0:124 offset1:187
	v_pk_mul_f32 v[32:33], v[26:27], v[22:23] op_sel_hi:[1,0]
	v_mov_b32_e32 v57, v59
	v_pk_fma_f32 v[72:73], v[26:27], v[18:19], v[32:33] op_sel:[0,0,1] op_sel_hi:[1,1,0] neg_lo:[0,0,1] neg_hi:[0,0,1]
	v_pk_fma_f32 v[26:27], v[26:27], v[18:19], v[32:33] op_sel:[0,0,1] op_sel_hi:[1,0,0]
	ds_read2_b64 v[32:35], v140 offset1:63
	s_waitcnt lgkmcnt(1)
	v_pk_mul_f32 v[74:75], v[30:31], v[16:17] op_sel:[0,1]
	v_mov_b32_e32 v73, v27
	v_pk_fma_f32 v[76:77], v[30:31], v[16:17], v[74:75] op_sel:[0,0,1] op_sel_hi:[1,1,0] neg_lo:[0,0,1] neg_hi:[0,0,1]
	v_pk_fma_f32 v[30:31], v[30:31], v[16:17], v[74:75] op_sel:[0,0,1] op_sel_hi:[1,0,0]
	v_mov_b32_e32 v61, v63
	v_mov_b32_e32 v77, v31
	s_waitcnt lgkmcnt(0)
	v_pk_add_f32 v[26:27], v[32:33], v[76:77]
	v_pk_add_f32 v[30:31], v[76:77], v[72:73]
	;; [unrolled: 1-line block ×3, first 2 shown]
	v_pk_add_f32 v[72:73], v[76:77], v[72:73] neg_lo:[0,1] neg_hi:[0,1]
	v_pk_fma_f32 v[30:31], v[30:31], 0.5, v[32:33] op_sel_hi:[1,0,1] neg_lo:[1,0,0] neg_hi:[1,0,0]
	v_pk_mul_f32 v[32:33], v[72:73], s[2:3] op_sel_hi:[1,0]
	v_accvgpr_write_b32 a7, v3
	v_pk_add_f32 v[72:73], v[30:31], v[32:33] op_sel:[0,1] op_sel_hi:[1,0]
	v_pk_add_f32 v[74:75], v[30:31], v[32:33] op_sel:[0,1] op_sel_hi:[1,0] neg_lo:[0,1] neg_hi:[0,1]
	v_mov_b32_e32 v78, v72
	v_mov_b32_e32 v79, v75
	ds_read_b64 v[76:77], v140 offset:7056
	ds_read2_b64 v[30:33], v140 offset0:126 offset1:189
	s_waitcnt lgkmcnt(0)
	; wave barrier
	s_waitcnt lgkmcnt(0)
	ds_write2_b64 v3, v[26:27], v[78:79] offset1:3
	v_pk_add_f32 v[26:27], v[56:57], v[60:61]
	v_mov_b32_e32 v75, v73
	v_pk_fma_f32 v[26:27], v[26:27], 0.5, v[34:35] op_sel_hi:[1,0,1] neg_lo:[1,0,0] neg_hi:[1,0,0]
	v_pk_add_f32 v[34:35], v[34:35], v[56:57]
	v_pk_add_f32 v[56:57], v[56:57], v[60:61] neg_lo:[0,1] neg_hi:[0,1]
	ds_write_b64 v3, v[74:75] offset:48
	v_pk_mul_f32 v[56:57], v[56:57], s[2:3] op_sel_hi:[1,0]
	v_mul_u32_u24_e32 v3, 9, v82
	v_pk_add_f32 v[58:59], v[26:27], v[56:57] op_sel:[0,1] op_sel_hi:[1,0]
	v_pk_add_f32 v[26:27], v[26:27], v[56:57] op_sel:[0,1] op_sel_hi:[1,0] neg_lo:[0,1] neg_hi:[0,1]
	v_add_lshl_u32 v3, v3, v83, 3
	v_mov_b32_e32 v57, v27
	v_mov_b32_e32 v53, v55
	;; [unrolled: 1-line block ×3, first 2 shown]
	v_pk_add_f32 v[34:35], v[34:35], v[60:61]
	v_mov_b32_e32 v56, v58
	v_mov_b32_e32 v49, v51
	ds_write_b64 v3, v[26:27] offset:48
	v_pk_add_f32 v[26:27], v[30:31], v[52:53]
	ds_write2_b64 v3, v[34:35], v[56:57] offset1:3
	v_pk_add_f32 v[26:27], v[26:27], v[48:49]
	v_pk_add_f32 v[34:35], v[52:53], v[48:49]
	v_pk_add_f32 v[48:49], v[52:53], v[48:49] neg_lo:[0,1] neg_hi:[0,1]
	v_pk_fma_f32 v[30:31], v[34:35], 0.5, v[30:31] op_sel_hi:[1,0,1] neg_lo:[1,0,0] neg_hi:[1,0,0]
	v_pk_mul_f32 v[34:35], v[48:49], s[2:3] op_sel_hi:[1,0]
	v_accvgpr_write_b32 a9, v3
	v_pk_add_f32 v[48:49], v[30:31], v[34:35] op_sel:[0,1] op_sel_hi:[1,0]
	v_pk_add_f32 v[30:31], v[30:31], v[34:35] op_sel:[0,1] op_sel_hi:[1,0] neg_lo:[0,1] neg_hi:[0,1]
	v_mul_u32_u24_e32 v3, 9, v80
	v_add_lshl_u32 v3, v3, v81, 3
	v_mov_b32_e32 v34, v48
	v_mov_b32_e32 v35, v31
	;; [unrolled: 1-line block ×4, first 2 shown]
	ds_write2_b64 v3, v[26:27], v[34:35] offset1:3
	v_pk_add_f32 v[26:27], v[38:39], v[44:45]
	v_mov_b32_e32 v31, v49
	v_pk_fma_f32 v[26:27], v[26:27], 0.5, v[32:33] op_sel_hi:[1,0,1] neg_lo:[1,0,0] neg_hi:[1,0,0]
	v_pk_add_f32 v[32:33], v[32:33], v[38:39]
	ds_write_b64 v3, v[30:31] offset:48
	v_pk_add_f32 v[30:31], v[32:33], v[44:45]
	v_pk_add_f32 v[32:33], v[38:39], v[44:45] neg_lo:[0,1] neg_hi:[0,1]
	v_accvgpr_write_b32 a11, v3
	v_pk_mul_f32 v[32:33], v[32:33], s[2:3] op_sel_hi:[1,0]
	v_mul_u32_u24_e32 v3, 9, v21
	v_pk_add_f32 v[34:35], v[26:27], v[32:33] op_sel:[0,1] op_sel_hi:[1,0]
	v_pk_add_f32 v[26:27], v[26:27], v[32:33] op_sel:[0,1] op_sel_hi:[1,0] neg_lo:[0,1] neg_hi:[0,1]
	v_mov_b32_e32 v22, v7
	v_add_lshl_u32 v3, v3, v69, 3
	v_mov_b32_e32 v32, v34
	v_mov_b32_e32 v33, v27
	v_pk_mul_f32 v[22:23], v[76:77], v[22:23] op_sel_hi:[1,0]
	ds_write2_b64 v3, v[30:31], v[32:33] offset1:3
	v_pk_fma_f32 v[30:31], v[76:77], v[6:7], v[22:23] op_sel:[0,0,1] op_sel_hi:[1,1,0] neg_lo:[0,0,1] neg_hi:[0,0,1]
	v_pk_fma_f32 v[22:23], v[76:77], v[6:7], v[22:23] op_sel:[0,0,1] op_sel_hi:[1,0,0]
	v_mov_b32_e32 v27, v35
	v_mov_b32_e32 v31, v23
	v_pk_add_f32 v[32:33], v[36:37], v[30:31] neg_lo:[0,1] neg_hi:[0,1]
	v_pk_add_f32 v[22:23], v[36:37], v[30:31]
	v_pk_mul_f32 v[32:33], v[32:33], s[2:3] op_sel_hi:[1,0]
	s_mov_b32 s3, 0xe38f
	v_mul_u32_u24_sdwa v15, v20, s3 dst_sel:DWORD dst_unused:UNUSED_PAD src0_sel:WORD_0 src1_sel:DWORD
	v_pk_fma_f32 v[22:23], v[22:23], 0.5, v[28:29] op_sel_hi:[1,0,1] neg_lo:[1,0,0] neg_hi:[1,0,0]
	v_lshrrev_b32_e32 v15, 19, v15
	v_accvgpr_write_b32 a10, v19
	v_pk_add_f32 v[28:29], v[28:29], v[36:37]
	v_pk_add_f32 v[36:37], v[22:23], v[32:33] op_sel:[0,1] op_sel_hi:[1,0] neg_lo:[0,1] neg_hi:[0,1]
	v_pk_add_f32 v[22:23], v[22:23], v[32:33] op_sel:[0,1] op_sel_hi:[1,0]
	v_accvgpr_write_b32 a13, v3
	ds_write_b64 v3, v[26:27] offset:48
	v_mad_legacy_u16 v3, v25, 9, v41
	v_mul_lo_u16_e32 v19, 9, v15
	v_pk_add_f32 v[26:27], v[28:29], v[30:31]
	v_lshlrev_b32_e32 v3, 3, v3
	v_mov_b32_e32 v28, v22
	v_mov_b32_e32 v29, v37
	;; [unrolled: 1-line block ×3, first 2 shown]
	v_sub_u16_e32 v19, v20, v19
	ds_write2_b64 v3, v[26:27], v[28:29] offset1:3
	v_accvgpr_write_b32 a14, v3
	ds_write_b64 v3, v[36:37] offset:48
	v_mov_b32_e32 v3, 57
	v_lshlrev_b16_e32 v20, 4, v19
	v_mov_b32_e32 v21, v85
	v_mul_lo_u16_sdwa v7, v24, v3 dst_sel:DWORD dst_unused:UNUSED_PAD src0_sel:BYTE_0 src1_sel:DWORD
	v_lshl_add_u64 v[20:21], s[10:11], 0, v[20:21]
	v_lshrrev_b16_e32 v7, 9, v7
	s_waitcnt lgkmcnt(0)
	; wave barrier
	s_waitcnt lgkmcnt(0)
	global_load_dwordx4 v[20:23], v[20:21], off offset:48
	v_accvgpr_write_b32 a8, v11
	v_mul_lo_u16_e32 v11, 9, v7
	v_sub_u16_e32 v11, v24, v11
	v_and_b32_e32 v11, 0xff, v11
	v_lshlrev_b32_e32 v24, 4, v11
	v_mul_lo_u16_sdwa v28, v68, v3 dst_sel:DWORD dst_unused:UNUSED_PAD src0_sel:BYTE_0 src1_sel:DWORD
	global_load_dwordx4 v[24:27], v24, s[10:11] offset:48
	v_lshrrev_b16_e32 v41, 9, v28
	v_mul_lo_u16_e32 v28, 9, v41
	v_sub_u16_e32 v28, v68, v28
	v_and_b32_e32 v69, 0xff, v28
	v_lshlrev_b32_e32 v28, 4, v69
	global_load_dwordx4 v[28:31], v28, s[10:11] offset:48
	v_mul_lo_u16_sdwa v32, v40, v3 dst_sel:DWORD dst_unused:UNUSED_PAD src0_sel:BYTE_0 src1_sel:DWORD
	v_lshrrev_b16_e32 v96, 9, v32
	v_mul_lo_u16_e32 v32, 9, v96
	v_sub_u16_e32 v32, v40, v32
	v_and_b32_e32 v97, 0xff, v32
	v_mul_lo_u16_sdwa v3, v166, v3 dst_sel:DWORD dst_unused:UNUSED_PAD src0_sel:BYTE_0 src1_sel:DWORD
	v_lshlrev_b32_e32 v32, 4, v97
	v_lshrrev_b16_e32 v3, 9, v3
	global_load_dwordx4 v[32:35], v32, s[10:11] offset:48
	v_mul_lo_u16_e32 v36, 9, v3
	v_sub_u16_e32 v36, v166, v36
	v_and_b32_e32 v94, 0xff, v36
	v_lshlrev_b32_e32 v36, 4, v94
	global_load_dwordx4 v[36:39], v36, s[10:11] offset:48
	ds_read2_b64 v[42:45], v65 offset0:120 offset1:183
	v_mul_lo_u16_e32 v3, 27, v3
	v_and_b32_e32 v3, 0xff, v3
	v_add_lshl_u32 v3, v3, v94, 3
	v_accvgpr_write_b32 a15, v3
	v_mov_b32_e32 v230, v17
	v_mov_b32_e32 v234, v9
	;; [unrolled: 1-line block ×3, first 2 shown]
	s_waitcnt vmcnt(4) lgkmcnt(0)
	v_pk_mul_f32 v[46:47], v[44:45], v[20:21] op_sel:[0,1]
	s_nop 0
	v_pk_fma_f32 v[52:53], v[44:45], v[20:21], v[46:47] op_sel:[0,0,1] op_sel_hi:[1,1,0] neg_lo:[0,0,1] neg_hi:[0,0,1]
	v_pk_fma_f32 v[54:55], v[44:45], v[20:21], v[46:47] op_sel:[0,0,1] op_sel_hi:[1,0,0]
	ds_read2_b64 v[44:47], v70 offset0:116 offset1:179
	v_mov_b32_e32 v194, v23
	v_mov_b32_e32 v53, v55
	;; [unrolled: 1-line block ×3, first 2 shown]
	s_waitcnt vmcnt(3)
	v_pk_mul_f32 v[48:49], v[42:43], v[24:25] op_sel:[0,1]
	v_mov_b32_e32 v192, v27
	v_pk_fma_f32 v[56:57], v[42:43], v[24:25], v[48:49] op_sel:[0,0,1] op_sel_hi:[1,1,0] neg_lo:[0,0,1] neg_hi:[0,0,1]
	v_pk_fma_f32 v[58:59], v[42:43], v[24:25], v[48:49] op_sel:[0,0,1] op_sel_hi:[1,0,0]
	s_waitcnt lgkmcnt(0)
	v_pk_mul_f32 v[42:43], v[46:47], v[192:193] op_sel_hi:[1,0]
	v_mov_b32_e32 v57, v59
	v_pk_fma_f32 v[60:61], v[46:47], v[26:27], v[42:43] op_sel:[0,0,1] op_sel_hi:[1,1,0] neg_lo:[0,0,1] neg_hi:[0,0,1]
	v_pk_fma_f32 v[62:63], v[46:47], v[26:27], v[42:43] op_sel:[0,0,1] op_sel_hi:[1,0,0]
	ds_read2_b64 v[46:49], v64 offset0:122 offset1:185
	s_waitcnt vmcnt(2)
	v_mov_b32_e32 v42, v31
	v_pk_mul_f32 v[42:43], v[44:45], v[42:43] op_sel_hi:[1,0]
	v_mov_b32_e32 v61, v63
	v_pk_fma_f32 v[72:73], v[44:45], v[30:31], v[42:43] op_sel:[0,0,1] op_sel_hi:[1,1,0] neg_lo:[0,0,1] neg_hi:[0,0,1]
	v_pk_fma_f32 v[74:75], v[44:45], v[30:31], v[42:43] op_sel:[0,0,1] op_sel_hi:[1,0,0]
	s_waitcnt lgkmcnt(0)
	v_pk_mul_f32 v[42:43], v[48:49], v[28:29] op_sel:[0,1]
	v_mov_b32_e32 v73, v75
	v_pk_fma_f32 v[76:77], v[48:49], v[28:29], v[42:43] op_sel:[0,0,1] op_sel_hi:[1,1,0] neg_lo:[0,0,1] neg_hi:[0,0,1]
	v_pk_fma_f32 v[78:79], v[48:49], v[28:29], v[42:43] op_sel:[0,0,1] op_sel_hi:[1,0,0]
	ds_read2_b64 v[42:45], v66 offset0:118 offset1:181
	s_waitcnt vmcnt(1)
	v_pk_mul_f32 v[48:49], v[46:47], v[32:33] op_sel:[0,1]
	v_mov_b32_e32 v77, v79
	v_pk_fma_f32 v[80:81], v[46:47], v[32:33], v[48:49] op_sel:[0,0,1] op_sel_hi:[1,1,0] neg_lo:[0,0,1] neg_hi:[0,0,1]
	v_pk_fma_f32 v[82:83], v[46:47], v[32:33], v[48:49] op_sel:[0,0,1] op_sel_hi:[1,0,0]
	v_mov_b32_e32 v46, v35
	s_waitcnt lgkmcnt(0)
	v_pk_mul_f32 v[46:47], v[44:45], v[46:47] op_sel_hi:[1,0]
	s_waitcnt vmcnt(0)
	v_mov_b32_e32 v48, v39
	v_pk_fma_f32 v[84:85], v[44:45], v[34:35], v[46:47] op_sel:[0,0,1] op_sel_hi:[1,1,0] neg_lo:[0,0,1] neg_hi:[0,0,1]
	v_pk_fma_f32 v[86:87], v[44:45], v[34:35], v[46:47] op_sel:[0,0,1] op_sel_hi:[1,0,0]
	ds_read2_b64 v[44:47], v71 offset0:124 offset1:187
	v_pk_mul_f32 v[48:49], v[42:43], v[48:49] op_sel_hi:[1,0]
	v_mov_b32_e32 v81, v83
	v_pk_fma_f32 v[88:89], v[42:43], v[38:39], v[48:49] op_sel:[0,0,1] op_sel_hi:[1,1,0] neg_lo:[0,0,1] neg_hi:[0,0,1]
	v_pk_fma_f32 v[42:43], v[42:43], v[38:39], v[48:49] op_sel:[0,0,1] op_sel_hi:[1,0,0]
	ds_read2_b64 v[48:51], v140 offset1:63
	s_waitcnt lgkmcnt(1)
	v_pk_mul_f32 v[90:91], v[46:47], v[36:37] op_sel:[0,1]
	v_mov_b32_e32 v89, v43
	v_pk_fma_f32 v[92:93], v[46:47], v[36:37], v[90:91] op_sel:[0,0,1] op_sel_hi:[1,1,0] neg_lo:[0,0,1] neg_hi:[0,0,1]
	v_pk_fma_f32 v[46:47], v[46:47], v[36:37], v[90:91] op_sel:[0,0,1] op_sel_hi:[1,0,0]
	v_mov_b32_e32 v85, v87
	v_mov_b32_e32 v93, v47
	s_waitcnt lgkmcnt(0)
	v_pk_add_f32 v[42:43], v[48:49], v[92:93]
	v_pk_add_f32 v[46:47], v[92:93], v[88:89]
	;; [unrolled: 1-line block ×3, first 2 shown]
	v_pk_add_f32 v[88:89], v[92:93], v[88:89] neg_lo:[0,1] neg_hi:[0,1]
	v_pk_fma_f32 v[46:47], v[46:47], 0.5, v[48:49] op_sel_hi:[1,0,1] neg_lo:[1,0,0] neg_hi:[1,0,0]
	v_pk_mul_f32 v[48:49], v[88:89], s[2:3] op_sel_hi:[1,0]
	v_accvgpr_write_b32 a20, v31
	v_pk_add_f32 v[88:89], v[46:47], v[48:49] op_sel:[0,1] op_sel_hi:[1,0]
	v_pk_add_f32 v[90:91], v[46:47], v[48:49] op_sel:[0,1] op_sel_hi:[1,0] neg_lo:[0,1] neg_hi:[0,1]
	v_mov_b32_e32 v94, v88
	v_mov_b32_e32 v95, v91
	ds_read_b64 v[92:93], v140 offset:7056
	ds_read2_b64 v[46:49], v140 offset0:126 offset1:189
	s_waitcnt lgkmcnt(0)
	; wave barrier
	s_waitcnt lgkmcnt(0)
	ds_write2_b64 v3, v[42:43], v[94:95] offset1:9
	v_pk_add_f32 v[42:43], v[80:81], v[84:85]
	v_mov_b32_e32 v91, v89
	v_pk_fma_f32 v[42:43], v[42:43], 0.5, v[50:51] op_sel_hi:[1,0,1] neg_lo:[1,0,0] neg_hi:[1,0,0]
	v_pk_add_f32 v[50:51], v[50:51], v[80:81]
	v_pk_add_f32 v[80:81], v[80:81], v[84:85] neg_lo:[0,1] neg_hi:[0,1]
	ds_write_b64 v3, v[90:91] offset:144
	v_pk_mul_f32 v[80:81], v[80:81], s[2:3] op_sel_hi:[1,0]
	v_mul_u32_u24_e32 v3, 27, v96
	v_pk_add_f32 v[82:83], v[42:43], v[80:81] op_sel:[0,1] op_sel_hi:[1,0]
	v_pk_add_f32 v[42:43], v[42:43], v[80:81] op_sel:[0,1] op_sel_hi:[1,0] neg_lo:[0,1] neg_hi:[0,1]
	v_add_lshl_u32 v3, v3, v97, 3
	v_mov_b32_e32 v81, v43
	v_mov_b32_e32 v43, v83
	v_pk_add_f32 v[50:51], v[50:51], v[84:85]
	v_mov_b32_e32 v80, v82
	ds_write_b64 v3, v[42:43] offset:144
	v_pk_add_f32 v[42:43], v[46:47], v[76:77]
	ds_write2_b64 v3, v[50:51], v[80:81] offset1:9
	v_pk_add_f32 v[42:43], v[42:43], v[72:73]
	v_pk_add_f32 v[50:51], v[76:77], v[72:73]
	v_pk_add_f32 v[72:73], v[76:77], v[72:73] neg_lo:[0,1] neg_hi:[0,1]
	v_pk_fma_f32 v[46:47], v[50:51], 0.5, v[46:47] op_sel_hi:[1,0,1] neg_lo:[1,0,0] neg_hi:[1,0,0]
	v_pk_mul_f32 v[50:51], v[72:73], s[2:3] op_sel_hi:[1,0]
	v_accvgpr_write_b32 a17, v3
	v_pk_add_f32 v[72:73], v[46:47], v[50:51] op_sel:[0,1] op_sel_hi:[1,0]
	v_pk_add_f32 v[46:47], v[46:47], v[50:51] op_sel:[0,1] op_sel_hi:[1,0] neg_lo:[0,1] neg_hi:[0,1]
	v_mul_u32_u24_e32 v3, 27, v41
	v_add_lshl_u32 v3, v3, v69, 3
	v_mov_b32_e32 v50, v72
	v_mov_b32_e32 v51, v47
	ds_write2_b64 v3, v[42:43], v[50:51] offset1:9
	v_pk_add_f32 v[42:43], v[56:57], v[60:61]
	v_mov_b32_e32 v47, v73
	v_pk_fma_f32 v[42:43], v[42:43], 0.5, v[48:49] op_sel_hi:[1,0,1] neg_lo:[1,0,0] neg_hi:[1,0,0]
	v_pk_add_f32 v[48:49], v[48:49], v[56:57]
	ds_write_b64 v3, v[46:47] offset:144
	v_pk_add_f32 v[46:47], v[48:49], v[60:61]
	v_pk_add_f32 v[48:49], v[56:57], v[60:61] neg_lo:[0,1] neg_hi:[0,1]
	v_accvgpr_write_b32 a19, v3
	v_pk_mul_f32 v[48:49], v[48:49], s[2:3] op_sel_hi:[1,0]
	v_mul_u32_u24_e32 v3, 27, v7
	v_pk_add_f32 v[50:51], v[42:43], v[48:49] op_sel:[0,1] op_sel_hi:[1,0]
	v_pk_add_f32 v[42:43], v[42:43], v[48:49] op_sel:[0,1] op_sel_hi:[1,0] neg_lo:[0,1] neg_hi:[0,1]
	v_add_lshl_u32 v167, v3, v11, 3
	v_mov_b32_e32 v48, v50
	v_mov_b32_e32 v49, v43
	ds_write2_b64 v167, v[46:47], v[48:49] offset1:9
	v_pk_mul_f32 v[46:47], v[92:93], v[194:195] op_sel_hi:[1,0]
	v_mad_legacy_u16 v3, v15, 27, v19
	v_pk_fma_f32 v[48:49], v[92:93], v[22:23], v[46:47] op_sel:[0,0,1] op_sel_hi:[1,1,0] neg_lo:[0,0,1] neg_hi:[0,0,1]
	v_pk_fma_f32 v[46:47], v[92:93], v[22:23], v[46:47] op_sel:[0,0,1] op_sel_hi:[1,0,0]
	v_lshlrev_b32_e32 v251, 3, v3
	v_mov_b32_e32 v3, 19
	v_mov_b32_e32 v49, v47
	v_mul_lo_u16_sdwa v15, v68, v3 dst_sel:DWORD dst_unused:UNUSED_PAD src0_sel:BYTE_0 src1_sel:DWORD
	v_pk_add_f32 v[46:47], v[52:53], v[48:49]
	v_lshrrev_b16_e32 v15, 9, v15
	v_pk_fma_f32 v[46:47], v[46:47], 0.5, v[44:45] op_sel_hi:[1,0,1] neg_lo:[1,0,0] neg_hi:[1,0,0]
	v_pk_add_f32 v[44:45], v[44:45], v[52:53]
	v_pk_add_f32 v[52:53], v[52:53], v[48:49] neg_lo:[0,1] neg_hi:[0,1]
	v_mul_lo_u16_e32 v19, 27, v15
	v_pk_mul_f32 v[52:53], v[52:53], s[2:3] op_sel_hi:[1,0]
	v_mul_lo_u16_sdwa v7, v40, v3 dst_sel:DWORD dst_unused:UNUSED_PAD src0_sel:BYTE_0 src1_sel:DWORD
	v_sub_u16_e32 v19, v68, v19
	v_pk_add_f32 v[54:55], v[46:47], v[52:53] op_sel:[0,1] op_sel_hi:[1,0] neg_lo:[0,1] neg_hi:[0,1]
	v_pk_add_f32 v[46:47], v[46:47], v[52:53] op_sel:[0,1] op_sel_hi:[1,0]
	v_mov_b32_e32 v43, v51
	v_lshrrev_b16_e32 v7, 9, v7
	v_and_b32_e32 v19, 0xff, v19
	ds_write_b64 v167, v[42:43] offset:144
	v_pk_add_f32 v[42:43], v[44:45], v[48:49]
	v_mov_b32_e32 v44, v46
	v_mov_b32_e32 v45, v55
	;; [unrolled: 1-line block ×3, first 2 shown]
	v_mul_lo_u16_e32 v11, 27, v7
	v_lshlrev_b32_e32 v23, 5, v19
	ds_write2_b64 v251, v[42:43], v[44:45] offset1:9
	ds_write_b64 v251, v[54:55] offset:144
	s_waitcnt lgkmcnt(0)
	; wave barrier
	s_waitcnt lgkmcnt(0)
	global_load_dwordx4 v[44:47], v23, s[10:11] offset:192
	v_sub_u16_e32 v11, v40, v11
	v_and_b32_e32 v11, 0xff, v11
	v_lshlrev_b32_e32 v27, 5, v11
	global_load_dwordx4 v[40:43], v27, s[10:11] offset:192
	global_load_dwordx4 v[60:63], v23, s[10:11] offset:208
	global_load_dwordx4 v[48:51], v27, s[10:11] offset:208
	v_mul_lo_u16_sdwa v3, v166, v3 dst_sel:DWORD dst_unused:UNUSED_PAD src0_sel:BYTE_0 src1_sel:DWORD
	v_lshrrev_b16_e32 v3, 9, v3
	v_mul_lo_u16_e32 v23, 27, v3
	v_sub_u16_e32 v23, v166, v23
	v_and_b32_e32 v23, 0xff, v23
	v_lshlrev_b32_e32 v27, 5, v23
	global_load_dwordx4 v[52:55], v27, s[10:11] offset:192
	global_load_dwordx4 v[56:59], v27, s[10:11] offset:208
	ds_read2_b64 v[72:75], v71 offset0:124 offset1:187
	ds_read2_b64 v[76:79], v66 offset0:118 offset1:181
	s_mov_b32 s2, 0x3f737871
	v_mul_u32_u24_e32 v3, 0x87, v3
	v_add_lshl_u32 v253, v3, v23, 3
	ds_read_b64 v[126:127], v140 offset:7056
	v_mul_u32_u24_e32 v3, 0x87, v7
	v_add_lshl_u32 v141, v3, v11, 3
	v_mul_u32_u24_e32 v3, 0x87, v15
	v_add_lshl_u32 v243, v3, v19, 3
	v_accvgpr_write_b32 a18, v35
	v_accvgpr_write_b32 a22, v39
	v_mov_b32_e32 v220, v37
	v_mov_b32_e32 v222, v33
	;; [unrolled: 1-line block ×4, first 2 shown]
	s_waitcnt vmcnt(5) lgkmcnt(2)
	v_pk_mul_f32 v[80:81], v[74:75], v[44:45] op_sel:[0,1]
	s_nop 0
	v_pk_fma_f32 v[82:83], v[74:75], v[44:45], v[80:81] op_sel:[0,0,1] op_sel_hi:[1,1,0] neg_lo:[0,0,1] neg_hi:[0,0,1]
	v_pk_fma_f32 v[80:81], v[74:75], v[44:45], v[80:81] op_sel:[0,0,1] op_sel_hi:[1,0,0]
	s_waitcnt vmcnt(4)
	v_pk_mul_f32 v[74:75], v[72:73], v[40:41] op_sel:[0,1]
	v_mov_b32_e32 v198, v43
	v_pk_fma_f32 v[84:85], v[72:73], v[40:41], v[74:75] op_sel:[0,0,1] op_sel_hi:[1,1,0] neg_lo:[0,0,1] neg_hi:[0,0,1]
	v_pk_fma_f32 v[86:87], v[72:73], v[40:41], v[74:75] op_sel:[0,0,1] op_sel_hi:[1,0,0]
	s_waitcnt vmcnt(3) lgkmcnt(1)
	v_pk_mul_f32 v[72:73], v[78:79], v[60:61] op_sel:[0,1]
	v_mov_b32_e32 v204, v47
	v_pk_fma_f32 v[88:89], v[78:79], v[60:61], v[72:73] op_sel:[0,0,1] op_sel_hi:[1,1,0] neg_lo:[0,0,1] neg_hi:[0,0,1]
	v_pk_fma_f32 v[90:91], v[78:79], v[60:61], v[72:73] op_sel:[0,0,1] op_sel_hi:[1,0,0]
	ds_read2_b64 v[72:75], v64 offset0:122 offset1:185
	s_waitcnt vmcnt(2)
	v_pk_mul_f32 v[78:79], v[76:77], v[48:49] op_sel:[0,1]
	s_waitcnt vmcnt(1)
	v_mov_b32_e32 v196, v55
	v_pk_fma_f32 v[92:93], v[76:77], v[48:49], v[78:79] op_sel:[0,0,1] op_sel_hi:[1,1,0] neg_lo:[0,0,1] neg_hi:[0,0,1]
	v_pk_fma_f32 v[94:95], v[76:77], v[48:49], v[78:79] op_sel:[0,0,1] op_sel_hi:[1,0,0]
	s_waitcnt lgkmcnt(0)
	v_pk_mul_f32 v[76:77], v[74:75], v[198:199] op_sel_hi:[1,0]
	v_pk_mul_f32 v[78:79], v[72:73], v[196:197] op_sel_hi:[1,0]
	v_pk_fma_f32 v[96:97], v[74:75], v[42:43], v[76:77] op_sel:[0,0,1] op_sel_hi:[1,1,0] neg_lo:[0,0,1] neg_hi:[0,0,1]
	v_pk_fma_f32 v[98:99], v[74:75], v[42:43], v[76:77] op_sel:[0,0,1] op_sel_hi:[1,0,0]
	ds_read2_b64 v[74:77], v65 offset0:120 offset1:183
	v_pk_fma_f32 v[100:101], v[72:73], v[54:55], v[78:79] op_sel:[0,0,1] op_sel_hi:[1,1,0] neg_lo:[0,0,1] neg_hi:[0,0,1]
	v_pk_fma_f32 v[78:79], v[72:73], v[54:55], v[78:79] op_sel:[0,0,1] op_sel_hi:[1,0,0]
	v_mov_b32_e32 v202, v51
	s_waitcnt vmcnt(0)
	v_mov_b32_e32 v200, v59
	s_waitcnt lgkmcnt(0)
	v_pk_mul_f32 v[72:73], v[74:75], v[204:205] op_sel_hi:[1,0]
	v_pk_mul_f32 v[106:107], v[76:77], v[56:57] op_sel:[0,1]
	v_pk_fma_f32 v[102:103], v[74:75], v[46:47], v[72:73] op_sel:[0,0,1] op_sel_hi:[1,1,0] neg_lo:[0,0,1] neg_hi:[0,0,1]
	v_pk_fma_f32 v[104:105], v[74:75], v[46:47], v[72:73] op_sel:[0,0,1] op_sel_hi:[1,0,0]
	ds_read2_b64 v[72:75], v70 offset0:116 offset1:179
	v_pk_fma_f32 v[108:109], v[76:77], v[56:57], v[106:107] op_sel:[0,0,1] op_sel_hi:[1,1,0] neg_lo:[0,0,1] neg_hi:[0,0,1]
	v_pk_fma_f32 v[106:107], v[76:77], v[56:57], v[106:107] op_sel:[0,0,1] op_sel_hi:[1,0,0]
	v_mov_b32_e32 v101, v79
	v_mov_b32_e32 v109, v107
	s_waitcnt lgkmcnt(0)
	v_pk_mul_f32 v[76:77], v[74:75], v[202:203] op_sel_hi:[1,0]
	v_pk_mul_f32 v[114:115], v[72:73], v[200:201] op_sel_hi:[1,0]
	v_pk_fma_f32 v[110:111], v[74:75], v[50:51], v[76:77] op_sel:[0,0,1] op_sel_hi:[1,1,0] neg_lo:[0,0,1] neg_hi:[0,0,1]
	v_pk_fma_f32 v[112:113], v[74:75], v[50:51], v[76:77] op_sel:[0,0,1] op_sel_hi:[1,0,0]
	ds_read2_b64 v[74:77], v140 offset0:126 offset1:189
	v_pk_fma_f32 v[116:117], v[72:73], v[58:59], v[114:115] op_sel:[0,0,1] op_sel_hi:[1,1,0] neg_lo:[0,0,1] neg_hi:[0,0,1]
	v_pk_fma_f32 v[72:73], v[72:73], v[58:59], v[114:115] op_sel:[0,0,1] op_sel_hi:[1,0,0]
	v_mov_b32_e32 v85, v87
	v_mov_b32_e32 v117, v73
	s_waitcnt lgkmcnt(0)
	v_pk_mul_f32 v[114:115], v[76:77], v[52:53] op_sel:[0,1]
	v_pk_add_f32 v[106:107], v[116:117], v[108:109] neg_lo:[0,1] neg_hi:[0,1]
	v_pk_fma_f32 v[118:119], v[76:77], v[52:53], v[114:115] op_sel:[0,0,1] op_sel_hi:[1,1,0] neg_lo:[0,0,1] neg_hi:[0,0,1]
	v_pk_fma_f32 v[76:77], v[76:77], v[52:53], v[114:115] op_sel:[0,0,1] op_sel_hi:[1,0,0]
	v_mov_b32_e32 v97, v99
	v_mov_b32_e32 v119, v77
	ds_read2_b64 v[76:79], v140 offset1:63
	v_pk_add_f32 v[72:73], v[118:119], v[100:101] neg_lo:[0,1] neg_hi:[0,1]
	v_pk_add_f32 v[114:115], v[118:119], v[116:117] neg_lo:[0,1] neg_hi:[0,1]
	v_pk_add_f32 v[72:73], v[72:73], v[106:107]
	v_pk_add_f32 v[106:107], v[100:101], v[108:109]
	v_pk_mul_f32 v[120:121], v[114:115], s[2:3] op_sel_hi:[1,0]
	s_waitcnt lgkmcnt(0)
	v_pk_fma_f32 v[106:107], v[106:107], 0.5, v[76:77] op_sel_hi:[1,0,1] neg_lo:[1,0,0] neg_hi:[1,0,0]
	v_mov_b32_e32 v93, v95
	v_pk_add_f32 v[122:123], v[106:107], v[120:121] op_sel:[0,1] op_sel_hi:[1,0]
	v_pk_add_f32 v[106:107], v[106:107], v[120:121] op_sel:[0,1] op_sel_hi:[1,0] neg_lo:[0,1] neg_hi:[0,1]
	v_pk_add_f32 v[120:121], v[100:101], v[108:109] neg_lo:[0,1] neg_hi:[0,1]
	v_mov_b32_e32 v111, v113
	v_pk_mul_f32 v[124:125], v[120:121], s[12:13] op_sel_hi:[1,0]
	s_nop 0
	v_pk_add_f32 v[106:107], v[106:107], v[124:125] op_sel:[0,1] op_sel_hi:[1,0] neg_lo:[0,1] neg_hi:[0,1]
	v_pk_add_f32 v[122:123], v[122:123], v[124:125] op_sel:[0,1] op_sel_hi:[1,0]
	v_pk_add_f32 v[124:125], v[76:77], v[118:119]
	v_mov_b32_e32 v128, v122
	v_pk_add_f32 v[124:125], v[124:125], v[100:101]
	v_pk_add_f32 v[100:101], v[100:101], v[118:119] neg_lo:[0,1] neg_hi:[0,1]
	v_pk_add_f32 v[124:125], v[124:125], v[108:109]
	v_pk_add_f32 v[118:119], v[118:119], v[116:117]
	v_pk_add_f32 v[108:109], v[108:109], v[116:117] neg_lo:[0,1] neg_hi:[0,1]
	v_pk_fma_f32 v[76:77], v[118:119], 0.5, v[76:77] op_sel_hi:[1,0,1] neg_lo:[1,0,0] neg_hi:[1,0,0]
	v_pk_add_f32 v[100:101], v[100:101], v[108:109]
	v_pk_mul_f32 v[108:109], v[120:121], s[2:3] op_sel_hi:[1,0]
	v_pk_add_f32 v[124:125], v[124:125], v[116:117]
	v_pk_add_f32 v[116:117], v[76:77], v[108:109] op_sel:[0,1] op_sel_hi:[1,0] neg_lo:[0,1] neg_hi:[0,1]
	v_pk_add_f32 v[76:77], v[76:77], v[108:109] op_sel:[0,1] op_sel_hi:[1,0]
	v_pk_mul_f32 v[108:109], v[114:115], s[12:13] op_sel_hi:[1,0]
	v_mov_b32_e32 v129, v107
	v_pk_add_f32 v[76:77], v[76:77], v[108:109] op_sel:[0,1] op_sel_hi:[1,0] neg_lo:[0,1] neg_hi:[0,1]
	v_pk_add_f32 v[108:109], v[116:117], v[108:109] op_sel:[0,1] op_sel_hi:[1,0]
	v_mov_b32_e32 v115, v77
	v_mov_b32_e32 v114, v108
	;; [unrolled: 1-line block ×4, first 2 shown]
	v_pk_fma_f32 v[128:129], v[72:73], s[14:15], v[128:129] op_sel_hi:[1,0,1]
	v_pk_fma_f32 v[108:109], v[100:101], s[14:15], v[114:115] op_sel_hi:[1,0,1]
	;; [unrolled: 1-line block ×4, first 2 shown]
	; wave barrier
	ds_write2_b64 v253, v[108:109], v[76:77] offset0:54 offset1:81
	ds_write_b64 v253, v[72:73] offset:864
	v_pk_add_f32 v[72:73], v[84:85], v[96:97] neg_lo:[0,1] neg_hi:[0,1]
	v_pk_add_f32 v[76:77], v[110:111], v[92:93] neg_lo:[0,1] neg_hi:[0,1]
	;; [unrolled: 1-line block ×3, first 2 shown]
	v_pk_add_f32 v[72:73], v[72:73], v[76:77]
	v_pk_add_f32 v[76:77], v[96:97], v[92:93]
	v_pk_mul_f32 v[94:95], v[86:87], s[2:3] op_sel_hi:[1,0]
	v_pk_fma_f32 v[76:77], v[76:77], 0.5, v[78:79] op_sel_hi:[1,0,1] neg_lo:[1,0,0] neg_hi:[1,0,0]
	ds_write2_b64 v253, v[124:125], v[128:129] offset1:27
	v_pk_add_f32 v[98:99], v[76:77], v[94:95] op_sel:[0,1] op_sel_hi:[1,0]
	v_pk_add_f32 v[76:77], v[76:77], v[94:95] op_sel:[0,1] op_sel_hi:[1,0] neg_lo:[0,1] neg_hi:[0,1]
	v_pk_add_f32 v[94:95], v[96:97], v[92:93] neg_lo:[0,1] neg_hi:[0,1]
	v_pk_mul_f32 v[86:87], v[86:87], s[12:13] op_sel_hi:[1,0]
	v_pk_mul_f32 v[100:101], v[94:95], s[12:13] op_sel_hi:[1,0]
	v_mov_b32_e32 v206, v63
	v_pk_add_f32 v[76:77], v[76:77], v[100:101] op_sel:[0,1] op_sel_hi:[1,0] neg_lo:[0,1] neg_hi:[0,1]
	v_pk_add_f32 v[98:99], v[98:99], v[100:101] op_sel:[0,1] op_sel_hi:[1,0]
	v_pk_add_f32 v[100:101], v[78:79], v[84:85]
	v_mov_b32_e32 v106, v98
	v_pk_add_f32 v[100:101], v[100:101], v[96:97]
	v_mov_b32_e32 v107, v77
	v_pk_add_f32 v[100:101], v[100:101], v[92:93]
	v_pk_fma_f32 v[106:107], v[72:73], s[14:15], v[106:107] op_sel_hi:[1,0,1]
	v_pk_add_f32 v[100:101], v[100:101], v[110:111]
	ds_write2_b64 v141, v[100:101], v[106:107] offset1:27
	v_pk_add_f32 v[100:101], v[84:85], v[110:111]
	v_pk_add_f32 v[84:85], v[96:97], v[84:85] neg_lo:[0,1] neg_hi:[0,1]
	v_pk_add_f32 v[92:93], v[92:93], v[110:111] neg_lo:[0,1] neg_hi:[0,1]
	v_pk_fma_f32 v[78:79], v[100:101], 0.5, v[78:79] op_sel_hi:[1,0,1] neg_lo:[1,0,0] neg_hi:[1,0,0]
	v_pk_add_f32 v[84:85], v[84:85], v[92:93]
	v_pk_mul_f32 v[92:93], v[94:95], s[2:3] op_sel_hi:[1,0]
	v_mov_b32_e32 v77, v99
	v_pk_add_f32 v[94:95], v[78:79], v[92:93] op_sel:[0,1] op_sel_hi:[1,0] neg_lo:[0,1] neg_hi:[0,1]
	v_pk_add_f32 v[78:79], v[78:79], v[92:93] op_sel:[0,1] op_sel_hi:[1,0]
	v_mov_b32_e32 v83, v81
	v_pk_add_f32 v[78:79], v[78:79], v[86:87] op_sel:[0,1] op_sel_hi:[1,0] neg_lo:[0,1] neg_hi:[0,1]
	v_pk_add_f32 v[86:87], v[94:95], v[86:87] op_sel:[0,1] op_sel_hi:[1,0]
	v_mov_b32_e32 v93, v79
	v_mov_b32_e32 v92, v86
	v_mov_b32_e32 v79, v87
	v_pk_fma_f32 v[86:87], v[84:85], s[14:15], v[92:93] op_sel_hi:[1,0,1]
	v_pk_fma_f32 v[78:79], v[84:85], s[14:15], v[78:79] op_sel_hi:[1,0,1]
	ds_write2_b64 v141, v[86:87], v[78:79] offset0:54 offset1:81
	v_pk_mul_f32 v[78:79], v[126:127], v[206:207] op_sel_hi:[1,0]
	v_mov_b32_e32 v103, v105
	v_pk_fma_f32 v[84:85], v[126:127], v[62:63], v[78:79] op_sel:[0,0,1] op_sel_hi:[1,1,0] neg_lo:[0,0,1] neg_hi:[0,0,1]
	v_pk_fma_f32 v[78:79], v[126:127], v[62:63], v[78:79] op_sel:[0,0,1] op_sel_hi:[1,0,0]
	v_mov_b32_e32 v89, v91
	v_mov_b32_e32 v85, v79
	;; [unrolled: 1-line block ×10, first 2 shown]
	v_pk_fma_f32 v[72:73], v[72:73], s[14:15], v[76:77] op_sel_hi:[1,0,1]
	v_pk_add_f32 v[92:93], v[80:81], v[78:79] neg_lo:[0,1] neg_hi:[0,1]
	v_pk_add_f32 v[80:81], v[80:81], v[86:87] neg_lo:[0,1] neg_hi:[0,1]
	v_pk_add_f32 v[78:79], v[78:79], v[90:91] neg_lo:[0,1] neg_hi:[0,1]
	ds_write_b64 v141, v[72:73] offset:864
	v_pk_add_f32 v[72:73], v[102:103], v[88:89]
	v_pk_add_f32 v[78:79], v[80:81], v[78:79]
	v_pk_fma_f32 v[72:73], v[72:73], 0.5, v[74:75] op_sel_hi:[1,0,1] neg_lo:[1,0,0] neg_hi:[1,0,0]
	v_pk_add_f32 v[86:87], v[86:87], v[90:91] neg_lo:[0,1] neg_hi:[0,1]
	v_pk_mul_f32 v[76:77], v[78:79], s[14:15] op_sel_hi:[1,0]
	v_pk_add_f32 v[78:79], v[74:75], v[82:83]
	v_pk_fma_f32 v[80:81], v[92:93], s[2:3], v[72:73] op_sel_hi:[1,0,1]
	v_pk_fma_f32 v[72:73], v[92:93], s[2:3], v[72:73] op_sel_hi:[1,0,1] neg_lo:[1,0,0] neg_hi:[1,0,0]
	v_pk_add_f32 v[78:79], v[78:79], v[102:103]
	v_pk_fma_f32 v[80:81], v[86:87], s[12:13], v[80:81] op_sel_hi:[1,0,1]
	v_pk_fma_f32 v[72:73], v[86:87], s[12:13], v[72:73] op_sel_hi:[1,0,1] neg_lo:[1,0,0] neg_hi:[1,0,0]
	v_pk_add_f32 v[78:79], v[78:79], v[88:89]
	v_mov_b32_e32 v91, v81
	v_mov_b32_e32 v81, v73
	v_pk_add_f32 v[78:79], v[78:79], v[84:85]
	v_pk_add_f32 v[80:81], v[76:77], v[80:81] op_sel:[1,0] op_sel_hi:[0,1]
	ds_write2_b64 v243, v[78:79], v[80:81] offset1:27
	v_pk_add_f32 v[78:79], v[82:83], v[84:85]
	v_pk_add_f32 v[80:81], v[88:89], v[84:85] neg_lo:[0,1] neg_hi:[0,1]
	v_pk_fma_f32 v[74:75], v[78:79], 0.5, v[74:75] op_sel_hi:[1,0,1] neg_lo:[1,0,0] neg_hi:[1,0,0]
	v_pk_add_f32 v[78:79], v[102:103], v[82:83] neg_lo:[0,1] neg_hi:[0,1]
	v_mov_b32_e32 v90, v72
	v_pk_add_f32 v[78:79], v[78:79], v[80:81]
	v_pk_fma_f32 v[80:81], v[86:87], s[2:3], v[74:75] op_sel_hi:[1,0,1] neg_lo:[1,0,0] neg_hi:[1,0,0]
	v_pk_fma_f32 v[74:75], v[86:87], s[2:3], v[74:75] op_sel_hi:[1,0,1]
	v_pk_fma_f32 v[80:81], v[92:93], s[12:13], v[80:81] op_sel_hi:[1,0,1]
	v_pk_fma_f32 v[74:75], v[92:93], s[12:13], v[74:75] op_sel_hi:[1,0,1] neg_lo:[1,0,0] neg_hi:[1,0,0]
	v_mov_b32_e32 v82, v80
	v_mov_b32_e32 v83, v75
	;; [unrolled: 1-line block ×3, first 2 shown]
	v_pk_fma_f32 v[80:81], v[78:79], s[14:15], v[82:83] op_sel_hi:[1,0,1]
	v_pk_fma_f32 v[74:75], v[78:79], s[14:15], v[74:75] op_sel_hi:[1,0,1]
	v_pk_add_f32 v[88:89], v[76:77], v[90:91] op_sel:[1,0] op_sel_hi:[0,1]
	ds_write2_b64 v243, v[80:81], v[74:75] offset0:54 offset1:81
	ds_write_b64 v243, v[88:89] offset:864
	s_waitcnt lgkmcnt(0)
	; wave barrier
	s_waitcnt lgkmcnt(0)
	ds_read2_b64 v[120:123], v64 offset0:14 offset1:77
	ds_read2_b64 v[116:119], v64 offset0:149 offset1:212
	;; [unrolled: 1-line block ×5, first 2 shown]
	ds_read2_b64 v[104:107], v140 offset1:63
	ds_read2_b64 v[132:135], v140 offset0:135 offset1:198
	s_load_dwordx2 s[12:13], s[0:1], 0x38
	v_cmp_lt_u16_e64 s[0:1], 8, v166
	v_accvgpr_write_b32 a24, v57
	v_accvgpr_write_b32 a26, v53
	v_accvgpr_write_b32 a28, v49
	v_accvgpr_write_b32 a30, v41
	v_accvgpr_write_b32 a32, v61
	v_accvgpr_write_b32 a34, v45
                                        ; implicit-def: $vgpr126
	s_and_saveexec_b64 s[2:3], vcc
	s_cbranch_execz .LBB0_3
; %bb.2:
	v_add_u32_e32 v1, 0x200, v140
	ds_read2_b64 v[128:131], v65 offset0:12 offset1:147
	ds_read2_b64 v[124:127], v70 offset0:26 offset1:161
	ds_read_b64 v[240:241], v140 offset:7488
	ds_read2_b64 v[88:91], v1 offset0:62 offset1:197
	s_waitcnt lgkmcnt(0)
	v_mov_b32_e32 v246, v131
	v_mov_b32_e32 v244, v127
	;; [unrolled: 1-line block ×6, first 2 shown]
.LBB0_3:
	s_or_b64 exec, exec, s[2:3]
	v_mad_u64_u32 v[70:71], s[2:3], v166, 48, s[10:11]
	global_load_dwordx4 v[64:67], v[70:71], off offset:1088
	global_load_dwordx4 v[92:95], v[70:71], off offset:1056
	;; [unrolled: 1-line block ×4, first 2 shown]
	s_mov_b64 s[2:3], 0xff0
	v_lshl_add_u64 v[70:71], v[70:71], 0, s[2:3]
	v_add_u32_e32 v1, -9, v166
	global_load_dwordx4 v[84:87], v[70:71], off offset:32
	global_load_dwordx4 v[96:99], v[70:71], off offset:16
	v_cndmask_b32_e32 v1, v1, v68, vcc
	v_mul_hi_i32_i24_e32 v69, 48, v1
	v_mul_i32_i24_e32 v68, 48, v1
	v_lshl_add_u64 v[72:73], s[10:11], 0, v[68:69]
	global_load_dwordx4 v[76:79], v[72:73], off offset:1072
	global_load_dwordx4 v[68:71], v[72:73], off offset:1056
	s_nop 0
	global_load_dwordx4 v[72:75], v[72:73], off offset:1088
	s_waitcnt lgkmcnt(0)
	v_mov_b32_e32 v178, v109
	v_mov_b32_e32 v179, v116
	;; [unrolled: 1-line block ×8, first 2 shown]
	s_mov_b32 s16, 0x3d64c772
	s_mov_b32 s17, 0x3f4a47b2
	;; [unrolled: 1-line block ×11, first 2 shown]
	v_accvgpr_mov_b32 a29, a28
	v_accvgpr_mov_b32 a27, a26
	v_mov_b32_e32 v239, v238
	v_mov_b32_e32 v7, v6
	;; [unrolled: 1-line block ×30, first 2 shown]
	v_accvgpr_mov_b32 a35, a34
	v_mov_b32_e32 v47, v46
	v_mov_b32_e32 v205, v204
	v_mov_b32_e32 v61, v60
	v_accvgpr_mov_b32 a33, a32
	v_mov_b32_e32 v63, v62
	v_mov_b32_e32 v207, v206
	v_mov_b32_e32 v41, v40
	;; [unrolled: 4-line block ×3, first 2 shown]
	v_mov_b32_e32 v51, v50
	v_mov_b32_e32 v203, v202
	;; [unrolled: 1-line block ×4, first 2 shown]
	s_waitcnt vmcnt(8)
	v_pk_mul_f32 v[180:181], v[136:137], v[66:67] op_sel_hi:[1,0]
	v_mov_b32_e32 v208, v67
	s_waitcnt vmcnt(7)
	v_pk_mul_f32 v[182:183], v[132:133], v[92:93] op_sel_hi:[1,0]
	s_waitcnt vmcnt(5)
	v_mul_f32_e32 v209, v117, v100
	v_pk_fma_f32 v[216:217], v[136:137], v[208:209], v[180:181] op_sel:[0,0,1] op_sel_hi:[1,0,0]
	v_pk_fma_f32 v[136:137], v[136:137], v[208:209], v[180:181] op_sel:[0,0,1] op_sel_hi:[1,0,0] neg_lo:[1,0,0] neg_hi:[1,0,0]
	v_pk_mul_f32 v[210:211], v[134:135], v[80:81] op_sel_hi:[1,0]
	s_waitcnt vmcnt(4)
	v_pk_mul_f32 v[180:181], v[138:139], v[86:87] op_sel_hi:[1,0]
	v_mov_b32_e32 v136, v87
	v_mul_f32_e32 v1, v121, v95
	v_pk_fma_f32 v[218:219], v[138:139], v[136:137], v[180:181] op_sel:[0,0,1] op_sel_hi:[1,0,0]
	v_pk_fma_f32 v[138:139], v[138:139], v[136:137], v[180:181] op_sel:[0,0,1] op_sel_hi:[1,0,0] neg_lo:[1,0,0] neg_hi:[1,0,0]
	v_mul_f32_e32 v5, v109, v65
	v_mov_b32_e32 v109, v117
	v_pk_fma_f32 v[180:181], v[132:133], v[92:93], v[182:183] op_sel:[0,1,1] op_sel_hi:[1,1,0]
	v_pk_fma_f32 v[132:133], v[132:133], v[92:93], v[182:183] op_sel:[0,1,1] op_sel_hi:[1,1,0] neg_lo:[1,0,0] neg_hi:[1,0,0]
	v_pk_fma_f32 v[182:183], v[134:135], v[80:81], v[210:211] op_sel:[0,1,1] op_sel_hi:[1,1,0]
	v_pk_fma_f32 v[134:135], v[134:135], v[80:81], v[210:211] op_sel:[0,1,1] op_sel_hi:[1,1,0] neg_lo:[1,0,0] neg_hi:[1,0,0]
	v_mul_f32_e32 v211, v116, v101
	v_mov_b32_e32 v116, v65
	v_mov_b32_e32 v117, v101
	v_fma_f32 v208, v120, v94, -v1
	v_mul_f32_e32 v1, v111, v85
	v_mov_b32_e32 v111, v119
	v_fma_f32 v210, v108, v64, -v5
	v_pk_mul_f32 v[188:189], v[108:109], v[116:117]
	v_mov_b32_e32 v108, v85
	s_waitcnt vmcnt(3)
	v_mov_b32_e32 v109, v97
	v_mul_f32_e32 v129, v115, v98
	v_mul_f32_e32 v131, v114, v99
	v_fma_f32 v186, v110, v84, -v1
	v_pk_mul_f32 v[190:191], v[110:111], v[108:109]
	s_waitcnt vmcnt(2)
	v_pk_mul_f32 v[108:109], v[246:247], v[76:77] op_sel_hi:[0,1]
	s_waitcnt vmcnt(1)
	v_pk_mul_f32 v[110:111], v[252:253], v[70:71] op_sel_hi:[0,1]
	v_mov_b32_e32 v121, v113
	v_mov_b32_e32 v212, v95
	v_mov_b32_e32 v213, v103
	v_mul_f32_e32 v3, v123, v83
	v_mov_b32_e32 v123, v115
	v_mov_b32_e32 v214, v83
	v_mul_f32_e32 v91, v113, v102
	v_mov_b32_e32 v215, v99
	v_mul_f32_e32 v127, v112, v103
	v_mul_f32_e32 v185, v119, v96
	;; [unrolled: 1-line block ×3, first 2 shown]
	v_mov_b32_e32 v116, v79
	v_mov_b32_e32 v117, v78
	s_waitcnt vmcnt(0)
	v_pk_mul_f32 v[112:113], v[244:245], v[72:73] op_sel_hi:[0,1]
	v_pk_fma_f32 v[114:115], v[130:131], v[76:77], v[108:109] op_sel:[0,0,1] op_sel_hi:[0,1,0]
	v_pk_fma_f32 v[108:109], v[130:131], v[76:77], v[108:109] op_sel:[0,0,1] op_sel_hi:[0,1,0] neg_lo:[0,0,1] neg_hi:[0,0,1]
	v_pk_fma_f32 v[118:119], v[128:129], v[70:71], v[110:111] op_sel:[0,0,1] op_sel_hi:[0,1,0]
	v_pk_fma_f32 v[110:111], v[128:129], v[70:71], v[110:111] op_sel:[0,0,1] op_sel_hi:[0,1,0] neg_lo:[0,0,1] neg_hi:[0,0,1]
	v_pk_mul_f32 v[212:213], v[120:121], v[212:213]
	v_pk_mul_f32 v[214:215], v[122:123], v[214:215]
	v_fma_f32 v184, v122, v82, -v3
	v_pk_mul_f32 v[120:121], v[250:251], v[116:117] op_sel_hi:[0,1]
	v_pk_fma_f32 v[122:123], v[126:127], v[72:73], v[112:113] op_sel:[0,0,1] op_sel_hi:[0,1,0]
	v_pk_fma_f32 v[112:113], v[126:127], v[72:73], v[112:113] op_sel:[0,0,1] op_sel_hi:[0,1,0] neg_lo:[0,0,1] neg_hi:[0,0,1]
	v_mov_b32_e32 v109, v115
	v_pk_mul_f32 v[114:115], v[248:249], v[68:69] op_sel_hi:[0,1]
	v_mov_b32_e32 v111, v119
	v_pk_mul_f32 v[118:119], v[242:243], v[74:75] op_sel_hi:[0,1]
	v_pk_fma_f32 v[244:245], v[124:125], v[78:79], v[120:121] op_sel_hi:[0,1,1]
	v_pk_fma_f32 v[120:121], v[124:125], v[78:79], v[120:121] op_sel_hi:[0,1,1] neg_lo:[0,0,1] neg_hi:[0,0,1]
	v_pk_fma_f32 v[124:125], v[90:91], v[68:69], v[114:115] op_sel:[0,0,1] op_sel_hi:[0,1,0]
	v_pk_fma_f32 v[114:115], v[90:91], v[68:69], v[114:115] op_sel:[0,0,1] op_sel_hi:[0,1,0] neg_lo:[0,0,1] neg_hi:[0,0,1]
	v_mov_b32_e32 v113, v123
	v_pk_fma_f32 v[122:123], v[240:241], v[74:75], v[118:119] op_sel:[0,0,1] op_sel_hi:[0,1,0]
	v_pk_fma_f32 v[118:119], v[240:241], v[74:75], v[118:119] op_sel:[0,0,1] op_sel_hi:[0,1,0] neg_lo:[0,0,1] neg_hi:[0,0,1]
	v_mov_b32_e32 v115, v125
	v_mov_b32_e32 v119, v123
	;; [unrolled: 1-line block ×3, first 2 shown]
	v_pk_add_f32 v[122:123], v[114:115], v[118:119]
	v_pk_add_f32 v[114:115], v[114:115], v[118:119] neg_lo:[0,1] neg_hi:[0,1]
	v_pk_add_f32 v[118:119], v[110:111], v[112:113]
	v_pk_add_f32 v[110:111], v[110:111], v[112:113] neg_lo:[0,1] neg_hi:[0,1]
	;; [unrolled: 2-line block ×3, first 2 shown]
	v_pk_add_f32 v[120:121], v[118:119], v[122:123]
	v_mov_b32_e32 v240, v112
	v_mov_b32_e32 v241, v121
	v_mov_b32_e32 v121, v113
	v_pk_add_f32 v[124:125], v[118:119], v[122:123] neg_lo:[0,1] neg_hi:[0,1]
	v_pk_add_f32 v[122:123], v[122:123], v[112:113] neg_lo:[0,1] neg_hi:[0,1]
	v_pk_add_f32 v[118:119], v[112:113], v[118:119] neg_lo:[0,1] neg_hi:[0,1]
	v_pk_add_f32 v[112:113], v[240:241], v[120:121]
	v_pk_add_f32 v[120:121], v[108:109], v[110:111] op_sel:[1,1] op_sel_hi:[0,0]
	v_pk_add_f32 v[240:241], v[108:109], v[110:111] op_sel:[1,1] op_sel_hi:[0,0] neg_lo:[0,1] neg_hi:[0,1]
	v_pk_add_f32 v[244:245], v[114:115], v[108:109] op_sel:[1,1] op_sel_hi:[0,0] neg_lo:[0,1] neg_hi:[0,1]
	v_pk_add_f32 v[108:109], v[88:89], v[112:113]
	v_pk_mul_f32 v[88:89], v[118:119], s[16:17] op_sel_hi:[1,0]
	v_pk_add_f32 v[110:111], v[110:111], v[114:115] op_sel:[1,1] op_sel_hi:[0,0] neg_lo:[0,1] neg_hi:[0,1]
	v_pk_add_f32 v[114:115], v[120:121], v[114:115] op_sel:[0,1] op_sel_hi:[1,0]
	v_pk_mul_f32 v[118:119], v[124:125], s[2:3] op_sel_hi:[1,0]
	v_pk_fma_f32 v[120:121], v[124:125], s[2:3], v[88:89] op_sel_hi:[1,0,1] neg_lo:[0,0,1] neg_hi:[0,0,1]
	s_mov_b32 s3, 0xbf4a47b2
	v_fmamk_f32 v124, v122, 0x3f4a47b2, v88
	v_fma_f32 v88, v122, s3, -v118
	v_fma_f32 v125, v123, s3, -v119
	v_pk_mul_f32 v[118:119], v[240:241], s[18:19] op_sel_hi:[1,0]
	v_fmac_f32_e32 v89, 0x3f4a47b2, v123
	v_pk_mul_f32 v[122:123], v[110:111], s[10:11] op_sel_hi:[1,0]
	v_pk_fma_f32 v[110:111], v[110:111], s[10:11], v[118:119] op_sel_hi:[1,0,1] neg_lo:[0,0,1] neg_hi:[0,0,1]
	s_mov_b32 s3, 0xbeae86e6
	v_pk_fma_f32 v[112:113], v[112:113], s[20:21], v[108:109] op_sel_hi:[1,0,1] neg_lo:[1,0,0] neg_hi:[1,0,0]
	v_fmamk_f32 v241, v245, 0x3eae86e6, v119
	v_fma_f32 v119, v245, s3, -v123
	v_fma_f32 v240, v244, s3, -v122
	v_fmac_f32_e32 v118, 0x3eae86e6, v244
	v_pk_add_f32 v[122:123], v[120:121], v[112:113]
	v_pk_fma_f32 v[246:247], v[114:115], s[14:15], v[110:111] op_sel_hi:[1,0,1]
	v_pk_add_f32 v[124:125], v[124:125], v[112:113]
	v_pk_add_f32 v[244:245], v[88:89], v[112:113]
	v_pk_fma_f32 v[112:113], v[114:115], s[14:15], v[118:119] op_sel_hi:[1,0,1]
	v_pk_add_f32 v[110:111], v[122:123], v[246:247] neg_lo:[0,1] neg_hi:[0,1]
	v_pk_add_f32 v[88:89], v[122:123], v[246:247]
	v_pk_fma_f32 v[240:241], v[114:115], s[14:15], v[240:241] op_sel_hi:[1,0,1]
	v_mov_b32_e32 v89, v111
	v_mov_b32_e32 v110, v247
	;; [unrolled: 1-line block ×5, first 2 shown]
	v_pk_add_f32 v[120:121], v[110:111], v[114:115]
	v_pk_add_f32 v[118:119], v[124:125], v[112:113] neg_lo:[0,1] neg_hi:[0,1]
	v_mov_b32_e32 v113, v241
	v_mov_b32_e32 v114, v122
	v_mov_b32_e32 v125, v240
	v_pk_add_f32 v[122:123], v[240:241], v[244:245]
	v_mov_b32_e32 v240, v94
	v_mov_b32_e32 v241, v102
	v_pk_fma_f32 v[240:241], v[176:177], v[240:241], v[212:213] neg_lo:[0,0,1] neg_hi:[0,0,1]
	v_pk_fma_f32 v[176:177], v[176:177], v[94:95], v[212:213]
	v_mov_b32_e32 v212, v64
	v_mov_b32_e32 v213, v100
	v_pk_fma_f32 v[212:213], v[178:179], v[212:213], v[188:189] neg_lo:[0,0,1] neg_hi:[0,0,1]
	v_pk_fma_f32 v[178:179], v[178:179], v[64:65], v[188:189]
	v_mov_b32_e32 v90, v133
	v_mov_b32_e32 v126, v137
	v_mov_b32_e32 v181, v133
	v_mov_b32_e32 v217, v137
	v_mov_b32_e32 v177, v241
	v_mov_b32_e32 v179, v213
	v_pk_add_f32 v[90:91], v[90:91], v[126:127]
	v_pk_add_f32 v[126:127], v[208:209], v[210:211]
	;; [unrolled: 1-line block ×3, first 2 shown]
	v_pk_add_f32 v[180:181], v[180:181], v[216:217] neg_lo:[0,1] neg_hi:[0,1]
	v_pk_add_f32 v[216:217], v[176:177], v[178:179]
	v_mov_b32_e32 v133, v208
	v_mov_b32_e32 v132, v91
	;; [unrolled: 1-line block ×4, first 2 shown]
	v_pk_add_f32 v[176:177], v[176:177], v[178:179] neg_lo:[0,1] neg_hi:[0,1]
	v_pk_add_f32 v[132:133], v[132:133], v[136:137] neg_lo:[0,1] neg_hi:[0,1]
	v_mov_b32_e32 v136, v213
	v_mov_b32_e32 v137, v216
	v_mov_b32_e32 v178, v241
	v_mov_b32_e32 v179, v188
	v_pk_add_f32 v[136:137], v[136:137], v[178:179]
	v_pk_add_f32 v[240:241], v[126:127], v[90:91]
	v_mov_b32_e32 v212, v136
	v_mov_b32_e32 v213, v188
	;; [unrolled: 1-line block ×7, first 2 shown]
	v_pk_add_f32 v[212:213], v[212:213], v[126:127] neg_lo:[0,1] neg_hi:[0,1]
	v_mov_b32_e32 v91, v241
	v_pk_add_f32 v[240:241], v[240:241], v[136:137]
	v_mov_b32_e32 v137, v216
	v_pk_add_f32 v[178:179], v[178:179], v[132:133] neg_lo:[0,1] neg_hi:[0,1]
	v_pk_add_f32 v[208:209], v[208:209], v[176:177] neg_lo:[0,1] neg_hi:[0,1]
	s_mov_b32 s19, s22
	v_pk_add_f32 v[136:137], v[90:91], v[136:137] neg_lo:[0,1] neg_hi:[0,1]
	v_pk_mul_f32 v[212:213], v[212:213], s[16:17]
	v_mov_b32_e32 v127, v216
	v_mov_b32_e32 v91, v188
	;; [unrolled: 1-line block ×4, first 2 shown]
	v_pk_mul_f32 v[208:209], v[208:209], s[18:19]
	v_pk_add_f32 v[210:211], v[176:177], v[132:133]
	v_pk_fma_f32 v[244:245], v[136:137], s[24:25], v[212:213]
	v_mov_b32_e32 v177, v133
	v_pk_add_f32 v[90:91], v[126:127], v[90:91] neg_lo:[0,1] neg_hi:[0,1]
	v_pk_mul_f32 v[126:127], v[178:179], s[22:23]
	v_pk_mul_f32 v[136:137], v[136:137], s[24:25]
	v_mov_b32_e32 v110, v112
	v_mov_b32_e32 v112, v124
	;; [unrolled: 1-line block ×3, first 2 shown]
	v_pk_add_f32 v[104:105], v[104:105], v[240:241]
	v_pk_fma_f32 v[246:247], v[178:179], s[22:23], v[208:209]
	v_pk_add_f32 v[132:133], v[176:177], v[180:181] neg_lo:[0,1] neg_hi:[0,1]
	v_mov_b32_e32 v176, v136
	v_mov_b32_e32 v177, v213
	;; [unrolled: 1-line block ×5, first 2 shown]
	v_pk_add_f32 v[210:211], v[210:211], v[180:181]
	v_pk_fma_f32 v[240:241], v[240:241], s[20:21], v[104:105] op_sel_hi:[1,0,1] neg_lo:[1,0,0] neg_hi:[1,0,0]
	v_pk_fma_f32 v[176:177], v[90:91], s[2:3], v[176:177] op_sel_hi:[1,0,1] neg_lo:[1,0,1] neg_hi:[1,0,1]
	v_mov_b32_e32 v178, v126
	v_pk_fma_f32 v[90:91], v[90:91], s[2:3], v[212:213] op_sel_hi:[1,0,1] neg_lo:[0,0,1] neg_hi:[0,0,1]
	v_pk_fma_f32 v[126:127], v[132:133], s[10:11], v[208:209] op_sel_hi:[1,0,1] neg_lo:[0,0,1] neg_hi:[0,0,1]
	v_pk_add_f32 v[90:91], v[90:91], v[240:241]
	v_pk_fma_f32 v[126:127], v[210:211], s[14:15], v[126:127] op_sel_hi:[1,0,1]
	v_pk_fma_f32 v[178:179], v[132:133], s[10:11], v[178:179] op_sel_hi:[1,0,1] neg_lo:[1,0,1] neg_hi:[1,0,1]
	v_pk_add_f32 v[132:133], v[90:91], v[126:127] neg_lo:[0,1] neg_hi:[0,1]
	v_pk_add_f32 v[90:91], v[90:91], v[126:127]
	v_pk_add_f32 v[176:177], v[176:177], v[240:241]
	v_mov_b32_e32 v127, v91
	v_mov_b32_e32 v91, v133
	v_pk_fma_f32 v[178:179], v[210:211], s[14:15], v[178:179] op_sel_hi:[1,0,1]
	v_mov_b32_e32 v126, v132
	ds_write_b64 v140, v[90:91] offset:4320
	v_mov_b32_e32 v90, v82
	v_mov_b32_e32 v91, v98
	;; [unrolled: 1-line block ×4, first 2 shown]
	v_pk_add_f32 v[180:181], v[176:177], v[178:179]
	v_pk_add_f32 v[176:177], v[176:177], v[178:179] neg_lo:[0,1] neg_hi:[0,1]
	ds_write_b64 v140, v[126:127] offset:3240
	v_pk_fma_f32 v[90:91], v[164:165], v[90:91], v[214:215] neg_lo:[0,0,1] neg_hi:[0,0,1]
	v_pk_fma_f32 v[126:127], v[164:165], v[82:83], v[214:215]
	v_pk_fma_f32 v[132:133], v[254:255], v[132:133], v[190:191] neg_lo:[0,0,1] neg_hi:[0,0,1]
	v_pk_fma_f32 v[136:137], v[254:255], v[84:85], v[190:191]
	v_mov_b32_e32 v178, v180
	v_mov_b32_e32 v179, v177
	;; [unrolled: 1-line block ×6, first 2 shown]
	ds_write_b64 v140, v[178:179] offset:2160
	v_pk_add_f32 v[164:165], v[182:183], v[218:219]
	v_pk_add_f32 v[178:179], v[126:127], v[136:137]
	v_mov_b32_e32 v128, v135
	v_mov_b32_e32 v130, v139
	v_pk_add_f32 v[128:129], v[128:129], v[130:131]
	v_pk_add_f32 v[130:131], v[184:185], v[186:187]
	v_mov_b32_e32 v132, v133
	v_mov_b32_e32 v133, v178
	;; [unrolled: 1-line block ×4, first 2 shown]
	v_pk_add_f32 v[244:245], v[244:245], v[240:241]
	v_pk_fma_f32 v[246:247], v[210:211], s[14:15], v[246:247] op_sel_hi:[1,0,1]
	v_pk_add_f32 v[90:91], v[132:133], v[90:91]
	v_pk_add_f32 v[132:133], v[130:131], v[128:129]
	;; [unrolled: 1-line block ×3, first 2 shown]
	v_pk_add_f32 v[244:245], v[244:245], v[246:247] neg_lo:[0,1] neg_hi:[0,1]
	v_mov_b32_e32 v177, v181
	v_pk_add_f32 v[126:127], v[126:127], v[136:137] neg_lo:[0,1] neg_hi:[0,1]
	v_mov_b32_e32 v135, v184
	v_mov_b32_e32 v134, v129
	;; [unrolled: 1-line block ×6, first 2 shown]
	v_pk_add_f32 v[132:133], v[132:133], v[90:91]
	v_mov_b32_e32 v246, v248
	v_mov_b32_e32 v247, v245
	ds_write_b64 v140, v[176:177] offset:5400
	v_mov_b32_e32 v245, v249
	v_pk_add_f32 v[176:177], v[182:183], v[218:219] neg_lo:[0,1] neg_hi:[0,1]
	v_pk_add_f32 v[134:135], v[134:135], v[136:137] neg_lo:[0,1] neg_hi:[0,1]
	v_pk_add_f32 v[106:107], v[106:107], v[132:133]
	ds_write_b64 v140, v[246:247] offset:1080
	ds_write_b64 v140, v[244:245] offset:6480
	ds_write2_b64 v140, v[104:105], v[106:107] offset1:63
	v_pk_fma_f32 v[104:105], v[132:133], s[20:21], v[106:107] op_sel_hi:[1,0,1] neg_lo:[1,0,0] neg_hi:[1,0,0]
	v_mov_b32_e32 v132, v134
	v_mov_b32_e32 v133, v177
	;; [unrolled: 1-line block ×6, first 2 shown]
	v_pk_add_f32 v[132:133], v[132:133], v[126:127] neg_lo:[0,1] neg_hi:[0,1]
	v_pk_add_f32 v[138:139], v[138:139], v[130:131] neg_lo:[0,1] neg_hi:[0,1]
	v_mov_b32_e32 v91, v178
	v_pk_add_f32 v[106:107], v[106:107], v[134:135] neg_lo:[0,1] neg_hi:[0,1]
	v_pk_mul_f32 v[132:133], v[132:133], s[18:19]
	v_pk_add_f32 v[90:91], v[128:129], v[90:91] neg_lo:[0,1] neg_hi:[0,1]
	v_pk_mul_f32 v[138:139], v[138:139], s[16:17]
	v_pk_add_f32 v[136:137], v[126:127], v[134:135]
	v_pk_fma_f32 v[180:181], v[90:91], s[24:25], v[138:139]
	v_pk_fma_f32 v[182:183], v[106:107], s[22:23], v[132:133]
	v_mov_b32_e32 v127, v135
	v_mov_b32_e32 v131, v178
	;; [unrolled: 1-line block ×3, first 2 shown]
	v_pk_mul_f32 v[106:107], v[106:107], s[22:23]
	v_pk_mul_f32 v[90:91], v[90:91], s[24:25]
	v_pk_add_f32 v[126:127], v[126:127], v[176:177] neg_lo:[0,1] neg_hi:[0,1]
	v_pk_add_f32 v[128:129], v[130:131], v[128:129] neg_lo:[0,1] neg_hi:[0,1]
	v_mov_b32_e32 v130, v90
	v_mov_b32_e32 v131, v139
	;; [unrolled: 1-line block ×5, first 2 shown]
	v_pk_add_f32 v[136:137], v[136:137], v[176:177]
	v_pk_fma_f32 v[130:131], v[128:129], s[2:3], v[130:131] op_sel_hi:[1,0,1] neg_lo:[1,0,1] neg_hi:[1,0,1]
	v_mov_b32_e32 v134, v106
	v_pk_fma_f32 v[90:91], v[128:129], s[2:3], v[138:139] op_sel_hi:[1,0,1] neg_lo:[0,0,1] neg_hi:[0,0,1]
	v_pk_fma_f32 v[106:107], v[126:127], s[10:11], v[132:133] op_sel_hi:[1,0,1] neg_lo:[0,0,1] neg_hi:[0,0,1]
	v_pk_add_f32 v[180:181], v[180:181], v[104:105]
	v_pk_fma_f32 v[134:135], v[126:127], s[10:11], v[134:135] op_sel_hi:[1,0,1] neg_lo:[1,0,1] neg_hi:[1,0,1]
	v_pk_add_f32 v[130:131], v[130:131], v[104:105]
	v_pk_add_f32 v[90:91], v[90:91], v[104:105]
	v_pk_fma_f32 v[104:105], v[136:137], s[14:15], v[106:107] op_sel_hi:[1,0,1]
	v_pk_fma_f32 v[182:183], v[136:137], s[14:15], v[182:183] op_sel_hi:[1,0,1]
	v_pk_fma_f32 v[134:135], v[136:137], s[14:15], v[134:135] op_sel_hi:[1,0,1]
	v_pk_add_f32 v[106:107], v[90:91], v[104:105] neg_lo:[0,1] neg_hi:[0,1]
	v_pk_add_f32 v[90:91], v[90:91], v[104:105]
	v_pk_add_f32 v[184:185], v[180:181], v[182:183]
	v_pk_add_f32 v[180:181], v[180:181], v[182:183] neg_lo:[0,1] neg_hi:[0,1]
	v_pk_add_f32 v[164:165], v[130:131], v[134:135]
	v_pk_add_f32 v[130:131], v[130:131], v[134:135] neg_lo:[0,1] neg_hi:[0,1]
	v_mov_b32_e32 v105, v91
	v_mov_b32_e32 v91, v107
	v_accvgpr_read_b32 v240, a20
	v_accvgpr_read_b32 v241, a20
	;; [unrolled: 1-line block ×4, first 2 shown]
	v_accvgpr_mov_b32 a22, a28
	v_accvgpr_mov_b32 a20, a26
	v_mov_b32_e32 v182, v184
	v_mov_b32_e32 v183, v181
	;; [unrolled: 1-line block ×5, first 2 shown]
	ds_write_b64 v140, v[90:91] offset:4824
	v_mov_b32_e32 v131, v165
	v_mov_b32_e32 v181, v185
	;; [unrolled: 1-line block ×3, first 2 shown]
	v_accvgpr_read_b32 v216, a16
	v_accvgpr_read_b32 v217, a16
	v_mov_b32_e32 v1, v0
	v_mov_b32_e32 v3, v2
	v_accvgpr_read_b32 v214, a12
	v_accvgpr_read_b32 v215, a12
	;; [unrolled: 1-line block ×10, first 2 shown]
	v_accvgpr_mov_b32 a23, a29
	v_accvgpr_mov_b32 a21, a27
	v_mov_b32_e32 v197, v196
	v_mov_b32_e32 v57, v56
	v_accvgpr_read_b32 v254, a24
	v_accvgpr_read_b32 v255, a24
	v_mov_b32_e32 v59, v58
	v_mov_b32_e32 v201, v200
	v_pk_add_f32 v[90:91], v[110:111], v[112:113] neg_lo:[0,1] neg_hi:[0,1]
	v_pk_add_f32 v[106:107], v[110:111], v[112:113]
	v_pk_add_f32 v[110:111], v[114:115], v[124:125] neg_lo:[0,1] neg_hi:[0,1]
	ds_write_b64 v140, v[182:183] offset:1584
	ds_write_b64 v140, v[134:135] offset:2664
	ds_write_b64 v140, v[104:105] offset:3744
	ds_write_b64 v140, v[130:131] offset:5904
	ds_write_b64 v140, v[180:181] offset:6984
	s_and_saveexec_b64 s[2:3], vcc
	s_cbranch_execz .LBB0_5
; %bb.4:
	v_mov_b32_e32 v107, v91
	v_add_u32_e32 v90, 0x200, v140
	ds_write2_b64 v90, v[108:109], v[106:107] offset0:62 offset1:197
	v_mov_b32_e32 v104, v122
	v_mov_b32_e32 v105, v119
	;; [unrolled: 1-line block ×4, first 2 shown]
	v_add_u32_e32 v90, 0xc00, v140
	ds_write2_b64 v90, v[104:105], v[108:109] offset0:12 offset1:147
	v_mov_b32_e32 v104, v111
	v_mov_b32_e32 v105, v121
	v_add_u32_e32 v90, 0x1400, v140
	ds_write2_b64 v90, v[88:89], v[104:105] offset0:26 offset1:161
	v_mov_b32_e32 v104, v118
	v_mov_b32_e32 v105, v123
	ds_write_b64 v140, v[104:105] offset:7488
.LBB0_5:
	s_or_b64 exec, exec, s[2:3]
	v_lshlrev_b32_e32 v104, 3, v166
	v_mov_b32_e32 v105, 0
	v_lshl_add_u64 v[104:105], s[8:9], 0, v[104:105]
	s_mov_b64 s[2:3], 0x1d88
	v_lshl_add_u64 v[124:125], v[104:105], 0, s[2:3]
	s_movk_i32 s2, 0x1000
	v_add_co_u32_e64 v108, s[2:3], s2, v104
	s_waitcnt lgkmcnt(0)
	s_nop 0
	v_addc_co_u32_e64 v109, s[2:3], 0, v105, s[2:3]
	; wave barrier
	global_load_dwordx2 v[108:109], v[108:109], off offset:3464
	ds_read2_b64 v[128:131], v140 offset1:63
	s_movk_i32 s2, 0x3000
	s_mov_b32 s10, 0x3f167918
	s_mov_b32 s8, 0x3e9e377a
	s_waitcnt vmcnt(0) lgkmcnt(0)
	v_mul_f32_e32 v90, v129, v109
	v_mul_f32_e32 v113, v128, v109
	v_fma_f32 v112, v128, v108, -v90
	v_fmac_f32_e32 v113, v129, v108
	global_load_dwordx2 v[108:109], v[124:125], off offset:2520
	ds_write_b64 v140, v[112:113]
	v_add_u32_e32 v128, 0x400, v140
	ds_read2_b64 v[112:115], v128 offset0:124 offset1:187
	s_waitcnt vmcnt(0) lgkmcnt(0)
	v_mul_f32_e32 v90, v115, v109
	v_mul_f32_e32 v127, v114, v109
	v_fma_f32 v126, v114, v108, -v90
	v_fmac_f32_e32 v127, v115, v108
	v_add_co_u32_e64 v108, s[2:3], s2, v104
	v_add_u32_e32 v90, 0x1000, v140
	s_nop 0
	v_addc_co_u32_e64 v109, s[2:3], 0, v105, s[2:3]
	global_load_dwordx2 v[136:137], v[108:109], off offset:312
	ds_read2_b64 v[132:135], v90 offset0:118 offset1:181
	s_movk_i32 s2, 0x2000
	v_add_co_u32_e64 v104, s[2:3], s2, v104
	s_nop 1
	v_addc_co_u32_e64 v105, s[2:3], 0, v105, s[2:3]
	global_load_dwordx2 v[104:105], v[104:105], off offset:3904
	s_mov_b32 s2, 0x3f5db3d7
	s_waitcnt vmcnt(1) lgkmcnt(0)
	v_mul_f32_e32 v107, v133, v137
	v_mul_f32_e32 v115, v132, v137
	v_fma_f32 v114, v132, v136, -v107
	v_fmac_f32_e32 v115, v133, v136
	global_load_dwordx2 v[132:133], v[124:125], off offset:504
	global_load_dwordx2 v[136:137], v[124:125], off offset:3024
	s_waitcnt vmcnt(1)
	v_mul_f32_e32 v107, v131, v133
	v_fma_f32 v138, v130, v132, -v107
	v_mul_f32_e32 v139, v130, v133
	v_add_u32_e32 v107, 0x800, v140
	v_fmac_f32_e32 v139, v131, v132
	ds_read2_b64 v[130:133], v107 offset0:122 offset1:185
	s_waitcnt vmcnt(0) lgkmcnt(0)
	v_mul_f32_e32 v129, v131, v137
	v_mul_f32_e32 v165, v130, v137
	v_fma_f32 v164, v130, v136, -v129
	v_fmac_f32_e32 v165, v131, v136
	ds_write2_b64 v107, v[126:127], v[164:165] offset0:59 offset1:122
	global_load_dwordx2 v[126:127], v[108:109], off offset:816
	s_waitcnt vmcnt(0)
	v_mul_f32_e32 v129, v135, v127
	v_mul_f32_e32 v165, v134, v127
	v_fma_f32 v164, v134, v126, -v129
	v_fmac_f32_e32 v165, v135, v126
	global_load_dwordx2 v[126:127], v[124:125], off offset:1008
	ds_read2_b64 v[134:137], v140 offset0:126 offset1:189
	s_waitcnt vmcnt(0) lgkmcnt(0)
	v_mul_f32_e32 v129, v135, v127
	v_mul_f32_e32 v131, v134, v127
	v_fma_f32 v130, v134, v126, -v129
	v_fmac_f32_e32 v131, v135, v126
	global_load_dwordx2 v[126:127], v[124:125], off offset:3528
	ds_write2_b64 v140, v[138:139], v[130:131] offset0:63 offset1:126
	s_waitcnt vmcnt(0)
	v_mul_f32_e32 v129, v133, v127
	v_mul_f32_e32 v139, v132, v127
	v_fma_f32 v138, v132, v126, -v129
	v_fmac_f32_e32 v139, v133, v126
	global_load_dwordx2 v[126:127], v[108:109], off offset:1320
	v_add_u32_e32 v129, 0x1400, v140
	ds_read2_b64 v[130:133], v129 offset0:116 offset1:179
	s_waitcnt vmcnt(0) lgkmcnt(0)
	v_mul_f32_e32 v134, v131, v127
	v_mul_f32_e32 v135, v130, v127
	v_fma_f32 v134, v130, v126, -v134
	v_fmac_f32_e32 v135, v131, v126
	global_load_dwordx2 v[126:127], v[124:125], off offset:1512
	ds_write2_b64 v90, v[164:165], v[134:135] offset0:181 offset1:244
	s_waitcnt vmcnt(0)
	v_mul_f32_e32 v130, v137, v127
	v_mul_f32_e32 v165, v136, v127
	v_fma_f32 v164, v136, v126, -v130
	v_fmac_f32_e32 v165, v137, v126
	global_load_dwordx2 v[126:127], v[124:125], off offset:4032
	v_add_u32_e32 v130, 0xc00, v140
	ds_read2_b64 v[134:137], v130 offset0:120 offset1:183
	global_load_dwordx2 v[124:125], v[124:125], off offset:2016
	s_waitcnt vmcnt(1) lgkmcnt(0)
	v_mul_f32_e32 v131, v135, v127
	v_mul_f32_e32 v177, v134, v127
	v_fma_f32 v176, v134, v126, -v131
	v_fmac_f32_e32 v177, v135, v126
	global_load_dwordx2 v[134:135], v[108:109], off offset:1824
	ds_write2_b64 v107, v[138:139], v[176:177] offset0:185 offset1:248
	global_load_dwordx2 v[108:109], v[108:109], off offset:2328
	s_waitcnt vmcnt(2)
	v_mul_f32_e32 v131, v113, v125
	s_waitcnt vmcnt(1)
	v_mul_f32_e32 v127, v132, v135
	v_mul_f32_e32 v126, v133, v135
	v_fmac_f32_e32 v127, v133, v134
	v_mul_f32_e32 v133, v112, v125
	v_fma_f32 v126, v132, v134, -v126
	v_fma_f32 v132, v112, v124, -v131
	v_fmac_f32_e32 v133, v113, v124
	v_mul_f32_e32 v112, v137, v105
	v_mul_f32_e32 v113, v136, v105
	v_fma_f32 v112, v136, v104, -v112
	v_fmac_f32_e32 v113, v137, v104
	ds_read_b64 v[104:105], v140 offset:7056
	ds_write2_b64 v90, v[112:113], v[114:115] offset0:55 offset1:118
	ds_write2_b64 v140, v[164:165], v[132:133] offset0:189 offset1:252
	s_waitcnt vmcnt(0) lgkmcnt(2)
	v_mul_f32_e32 v112, v105, v109
	v_mul_f32_e32 v113, v104, v109
	v_fma_f32 v112, v104, v108, -v112
	v_fmac_f32_e32 v113, v105, v108
	v_add_u32_e32 v108, 0x1800, v140
	ds_write2_b64 v108, v[126:127], v[112:113] offset0:51 offset1:114
	s_waitcnt lgkmcnt(0)
	; wave barrier
	s_waitcnt lgkmcnt(0)
	ds_read2_b64 v[112:115], v140 offset1:63
	ds_read2_b64 v[124:127], v107 offset0:122 offset1:185
	ds_read2_b64 v[132:135], v90 offset0:118 offset1:181
	v_accvgpr_read_b32 v109, a1
	s_waitcnt lgkmcnt(1)
	v_pk_add_f32 v[104:105], v[114:115], v[124:125]
	s_waitcnt lgkmcnt(0)
	v_pk_add_f32 v[136:137], v[124:125], v[134:135]
	v_pk_add_f32 v[104:105], v[104:105], v[134:135]
	v_pk_fma_f32 v[114:115], v[136:137], 0.5, v[114:115] op_sel_hi:[1,0,1] neg_lo:[1,0,0] neg_hi:[1,0,0]
	v_pk_add_f32 v[124:125], v[124:125], v[134:135] neg_lo:[0,1] neg_hi:[0,1]
	ds_read2_b64 v[134:137], v140 offset0:126 offset1:189
	ds_read2_b64 v[244:247], v129 offset0:116 offset1:179
	v_pk_mul_f32 v[124:125], v[124:125], s[2:3] op_sel_hi:[1,0]
	s_nop 0
	v_pk_add_f32 v[138:139], v[114:115], v[124:125] op_sel:[0,1] op_sel_hi:[1,0] neg_lo:[0,1] neg_hi:[0,1]
	v_pk_add_f32 v[114:115], v[114:115], v[124:125] op_sel:[0,1] op_sel_hi:[1,0]
	s_waitcnt lgkmcnt(1)
	v_pk_add_f32 v[124:125], v[134:135], v[126:127]
	s_waitcnt lgkmcnt(0)
	v_pk_add_f32 v[164:165], v[124:125], v[244:245]
	v_pk_add_f32 v[124:125], v[126:127], v[244:245]
	v_pk_add_f32 v[126:127], v[126:127], v[244:245] neg_lo:[0,1] neg_hi:[0,1]
	v_pk_fma_f32 v[124:125], v[124:125], 0.5, v[134:135] op_sel_hi:[1,0,1] neg_lo:[1,0,0] neg_hi:[1,0,0]
	v_pk_mul_f32 v[126:127], v[126:127], s[2:3] op_sel_hi:[1,0]
	s_nop 0
	v_pk_add_f32 v[176:177], v[124:125], v[126:127] op_sel:[0,1] op_sel_hi:[1,0] neg_lo:[0,1] neg_hi:[0,1]
	v_pk_add_f32 v[178:179], v[124:125], v[126:127] op_sel:[0,1] op_sel_hi:[1,0]
	ds_read2_b64 v[124:127], v130 offset0:120 offset1:183
	s_waitcnt lgkmcnt(0)
	v_pk_add_f32 v[134:135], v[136:137], v[124:125]
	s_nop 0
	v_pk_add_f32 v[180:181], v[134:135], v[246:247]
	v_pk_add_f32 v[134:135], v[124:125], v[246:247]
	v_pk_add_f32 v[124:125], v[124:125], v[246:247] neg_lo:[0,1] neg_hi:[0,1]
	v_pk_fma_f32 v[134:135], v[134:135], 0.5, v[136:137] op_sel_hi:[1,0,1] neg_lo:[1,0,0] neg_hi:[1,0,0]
	v_pk_mul_f32 v[124:125], v[124:125], s[2:3] op_sel_hi:[1,0]
	s_nop 0
	v_pk_add_f32 v[182:183], v[134:135], v[124:125] op_sel:[0,1] op_sel_hi:[1,0] neg_lo:[0,1] neg_hi:[0,1]
	v_pk_add_f32 v[124:125], v[134:135], v[124:125] op_sel:[0,1] op_sel_hi:[1,0]
	ds_read2_b64 v[134:137], v128 offset0:124 offset1:187
	ds_read_b64 v[184:185], v140 offset:7056
	s_waitcnt lgkmcnt(0)
	; wave barrier
	s_waitcnt lgkmcnt(0)
	v_pk_add_f32 v[188:189], v[112:113], v[136:137]
	s_nop 0
	v_pk_add_f32 v[188:189], v[188:189], v[132:133]
	v_pk_add_f32 v[190:191], v[136:137], v[132:133]
	v_pk_add_f32 v[132:133], v[136:137], v[132:133] neg_lo:[0,1] neg_hi:[0,1]
	v_pk_fma_f32 v[112:113], v[190:191], 0.5, v[112:113] op_sel_hi:[1,0,1] neg_lo:[1,0,0] neg_hi:[1,0,0]
	v_pk_mul_f32 v[132:133], v[132:133], s[2:3] op_sel_hi:[1,0]
	v_pk_add_f32 v[186:187], v[134:135], v[126:127]
	v_pk_add_f32 v[136:137], v[112:113], v[132:133] op_sel:[0,1] op_sel_hi:[1,0] neg_lo:[0,1] neg_hi:[0,1]
	v_pk_add_f32 v[112:113], v[112:113], v[132:133] op_sel:[0,1] op_sel_hi:[1,0]
	v_mov_b32_e32 v132, v136
	v_mov_b32_e32 v133, v113
	;; [unrolled: 1-line block ×3, first 2 shown]
	ds_write2_b64 v109, v[188:189], v[132:133] offset1:1
	ds_write_b64 v109, v[112:113] offset:16
	v_mov_b32_e32 v112, v138
	v_mov_b32_e32 v113, v115
	v_accvgpr_read_b32 v109, a2
	v_mov_b32_e32 v115, v139
	ds_write2_b64 v109, v[104:105], v[112:113] offset1:1
	ds_write_b64 v109, v[114:115] offset:16
	v_mov_b32_e32 v104, v176
	v_mov_b32_e32 v105, v179
	v_accvgpr_read_b32 v109, a4
	v_mov_b32_e32 v179, v177
	ds_write2_b64 v109, v[164:165], v[104:105] offset1:1
	ds_write_b64 v109, v[178:179] offset:16
	v_mov_b32_e32 v104, v182
	v_mov_b32_e32 v105, v125
	v_accvgpr_read_b32 v109, a5
	ds_write2_b64 v109, v[180:181], v[104:105] offset1:1
	v_pk_add_f32 v[104:105], v[126:127], v[184:185]
	v_pk_add_f32 v[112:113], v[126:127], v[184:185] neg_lo:[0,1] neg_hi:[0,1]
	v_pk_fma_f32 v[104:105], v[104:105], 0.5, v[134:135] op_sel_hi:[1,0,1] neg_lo:[1,0,0] neg_hi:[1,0,0]
	v_pk_mul_f32 v[112:113], v[112:113], s[2:3] op_sel_hi:[1,0]
	v_mov_b32_e32 v125, v183
	v_pk_add_f32 v[114:115], v[104:105], v[112:113] op_sel:[0,1] op_sel_hi:[1,0] neg_lo:[0,1] neg_hi:[0,1]
	v_pk_add_f32 v[104:105], v[104:105], v[112:113] op_sel:[0,1] op_sel_hi:[1,0]
	v_pk_add_f32 v[186:187], v[186:187], v[184:185]
	ds_write_b64 v109, v[124:125] offset:16
	v_mov_b32_e32 v112, v114
	v_mov_b32_e32 v113, v105
	v_accvgpr_read_b32 v109, a3
	v_mov_b32_e32 v105, v115
	ds_write2_b64 v109, v[186:187], v[112:113] offset1:1
	ds_write_b64 v109, v[104:105] offset:16
	s_waitcnt lgkmcnt(0)
	; wave barrier
	s_waitcnt lgkmcnt(0)
	ds_read2_b64 v[112:115], v128 offset0:124 offset1:187
	ds_read2_b64 v[124:127], v130 offset0:120 offset1:183
	ds_read_b64 v[104:105], v140 offset:7056
	s_waitcnt lgkmcnt(1)
	v_pk_mul_f32 v[132:133], v[238:239], v[126:127]
	s_nop 0
	v_pk_fma_f32 v[136:137], v[4:5], v[126:127], v[132:133] op_sel:[0,0,1] op_sel_hi:[1,1,0]
	v_pk_fma_f32 v[4:5], v[4:5], v[126:127], v[132:133] op_sel:[0,0,1] op_sel_hi:[1,1,0] neg_lo:[0,0,1] neg_hi:[0,0,1]
	v_pk_mul_f32 v[126:127], v[236:237], v[124:125]
	v_mov_b32_e32 v137, v5
	s_waitcnt lgkmcnt(0)
	v_pk_mul_f32 v[4:5], v[216:217], v[104:105]
	v_pk_fma_f32 v[176:177], v[0:1], v[124:125], v[126:127] op_sel:[0,0,1] op_sel_hi:[1,1,0]
	v_pk_fma_f32 v[138:139], v[6:7], v[104:105], v[4:5] op_sel:[0,0,1] op_sel_hi:[1,1,0]
	v_pk_fma_f32 v[4:5], v[6:7], v[104:105], v[4:5] op_sel:[0,0,1] op_sel_hi:[1,1,0] neg_lo:[0,0,1] neg_hi:[0,0,1]
	v_pk_fma_f32 v[0:1], v[0:1], v[124:125], v[126:127] op_sel:[0,0,1] op_sel_hi:[1,1,0] neg_lo:[0,0,1] neg_hi:[0,0,1]
	v_mov_b32_e32 v139, v5
	v_pk_add_f32 v[4:5], v[136:137], v[138:139]
	v_pk_add_f32 v[6:7], v[136:137], v[138:139] neg_lo:[0,1] neg_hi:[0,1]
	v_pk_fma_f32 v[4:5], v[4:5], 0.5, v[112:113] op_sel_hi:[1,0,1] neg_lo:[1,0,0] neg_hi:[1,0,0]
	v_pk_mul_f32 v[6:7], v[6:7], s[2:3] op_sel_hi:[1,0]
	v_mov_b32_e32 v177, v1
	v_pk_add_f32 v[104:105], v[4:5], v[6:7] op_sel:[0,1] op_sel_hi:[1,0]
	v_pk_add_f32 v[164:165], v[4:5], v[6:7] op_sel:[0,1] op_sel_hi:[1,0] neg_lo:[0,1] neg_hi:[0,1]
	ds_read2_b64 v[4:7], v140 offset0:126 offset1:189
	ds_read2_b64 v[132:135], v129 offset0:116 offset1:179
	s_waitcnt lgkmcnt(0)
	v_pk_mul_f32 v[0:1], v[214:215], v[134:135]
	s_nop 0
	v_pk_fma_f32 v[178:179], v[2:3], v[134:135], v[0:1] op_sel:[0,0,1] op_sel_hi:[1,1,0]
	v_pk_fma_f32 v[0:1], v[2:3], v[134:135], v[0:1] op_sel:[0,0,1] op_sel_hi:[1,1,0] neg_lo:[0,0,1] neg_hi:[0,0,1]
	s_nop 0
	v_mov_b32_e32 v179, v1
	v_pk_add_f32 v[0:1], v[6:7], v[176:177]
	s_nop 0
	v_pk_add_f32 v[134:135], v[0:1], v[178:179]
	ds_read2_b64 v[0:3], v107 offset0:122 offset1:185
	s_waitcnt lgkmcnt(0)
	v_pk_mul_f32 v[124:125], v[234:235], v[2:3]
	s_nop 0
	v_pk_fma_f32 v[180:181], v[8:9], v[2:3], v[124:125] op_sel:[0,0,1] op_sel_hi:[1,1,0]
	v_pk_fma_f32 v[2:3], v[8:9], v[2:3], v[124:125] op_sel:[0,0,1] op_sel_hi:[1,1,0] neg_lo:[0,0,1] neg_hi:[0,0,1]
	s_nop 0
	v_mov_b32_e32 v181, v3
	v_pk_mul_f32 v[2:3], v[210:211], v[132:133]
	s_nop 0
	v_pk_fma_f32 v[182:183], v[10:11], v[132:133], v[2:3] op_sel:[0,0,1] op_sel_hi:[1,1,0]
	v_pk_fma_f32 v[2:3], v[10:11], v[132:133], v[2:3] op_sel:[0,0,1] op_sel_hi:[1,1,0] neg_lo:[0,0,1] neg_hi:[0,0,1]
	ds_read2_b64 v[8:11], v140 offset1:63
	ds_read2_b64 v[124:127], v90 offset0:118 offset1:181
	v_pk_mul_f32 v[132:133], v[232:233], v[0:1]
	s_waitcnt lgkmcnt(0)
	v_pk_fma_f32 v[184:185], v[12:13], v[0:1], v[132:133] op_sel:[0,0,1] op_sel_hi:[1,1,0]
	v_pk_fma_f32 v[0:1], v[12:13], v[0:1], v[132:133] op_sel:[0,0,1] op_sel_hi:[1,1,0] neg_lo:[0,0,1] neg_hi:[0,0,1]
	; wave barrier
	s_nop 0
	v_mov_b32_e32 v185, v1
	v_pk_mul_f32 v[0:1], v[208:209], v[126:127]
	v_mov_b32_e32 v183, v3
	v_pk_fma_f32 v[12:13], v[14:15], v[126:127], v[0:1] op_sel:[0,0,1] op_sel_hi:[1,1,0]
	v_pk_fma_f32 v[0:1], v[14:15], v[126:127], v[0:1] op_sel:[0,0,1] op_sel_hi:[1,1,0] neg_lo:[0,0,1] neg_hi:[0,0,1]
	v_pk_mul_f32 v[14:15], v[230:231], v[114:115]
	v_mov_b32_e32 v13, v1
	v_pk_fma_f32 v[126:127], v[16:17], v[114:115], v[14:15] op_sel:[0,0,1] op_sel_hi:[1,1,0]
	v_pk_fma_f32 v[14:15], v[16:17], v[114:115], v[14:15] op_sel:[0,0,1] op_sel_hi:[1,1,0] neg_lo:[0,0,1] neg_hi:[0,0,1]
	v_pk_add_f32 v[0:1], v[10:11], v[184:185]
	v_mov_b32_e32 v127, v15
	v_pk_mul_f32 v[14:15], v[212:213], v[124:125]
	v_pk_add_f32 v[0:1], v[0:1], v[12:13]
	v_pk_fma_f32 v[16:17], v[18:19], v[124:125], v[14:15] op_sel:[0,0,1] op_sel_hi:[1,1,0]
	v_pk_fma_f32 v[14:15], v[18:19], v[124:125], v[14:15] op_sel:[0,0,1] op_sel_hi:[1,1,0] neg_lo:[0,0,1] neg_hi:[0,0,1]
	v_pk_add_f32 v[2:3], v[4:5], v[180:181]
	v_mov_b32_e32 v17, v15
	v_pk_add_f32 v[14:15], v[8:9], v[126:127]
	v_pk_add_f32 v[18:19], v[126:127], v[16:17]
	;; [unrolled: 1-line block ×3, first 2 shown]
	v_pk_add_f32 v[16:17], v[126:127], v[16:17] neg_lo:[0,1] neg_hi:[0,1]
	v_pk_fma_f32 v[8:9], v[18:19], 0.5, v[8:9] op_sel_hi:[1,0,1] neg_lo:[1,0,0] neg_hi:[1,0,0]
	v_pk_mul_f32 v[16:17], v[16:17], s[2:3] op_sel_hi:[1,0]
	v_pk_add_f32 v[2:3], v[2:3], v[182:183]
	v_pk_add_f32 v[18:19], v[8:9], v[16:17] op_sel:[0,1] op_sel_hi:[1,0] neg_lo:[0,1] neg_hi:[0,1]
	v_pk_add_f32 v[8:9], v[8:9], v[16:17] op_sel:[0,1] op_sel_hi:[1,0]
	v_mov_b32_e32 v16, v18
	v_mov_b32_e32 v17, v9
	v_accvgpr_read_b32 v18, a7
	v_mov_b32_e32 v9, v19
	ds_write_b64 v18, v[8:9] offset:48
	v_pk_add_f32 v[8:9], v[184:185], v[12:13]
	ds_write2_b64 v18, v[14:15], v[16:17] offset1:3
	v_pk_fma_f32 v[8:9], v[8:9], 0.5, v[10:11] op_sel_hi:[1,0,1] neg_lo:[1,0,0] neg_hi:[1,0,0]
	v_pk_add_f32 v[10:11], v[184:185], v[12:13] neg_lo:[0,1] neg_hi:[0,1]
	s_nop 0
	v_pk_mul_f32 v[10:11], v[10:11], s[2:3] op_sel_hi:[1,0]
	s_nop 0
	v_pk_add_f32 v[12:13], v[8:9], v[10:11] op_sel:[0,1] op_sel_hi:[1,0] neg_lo:[0,1] neg_hi:[0,1]
	v_pk_add_f32 v[8:9], v[8:9], v[10:11] op_sel:[0,1] op_sel_hi:[1,0]
	v_mov_b32_e32 v10, v12
	v_mov_b32_e32 v11, v9
	v_accvgpr_read_b32 v12, a9
	ds_write2_b64 v12, v[0:1], v[10:11] offset1:3
	v_pk_add_f32 v[0:1], v[180:181], v[182:183]
	v_mov_b32_e32 v9, v13
	v_pk_fma_f32 v[0:1], v[0:1], 0.5, v[4:5] op_sel_hi:[1,0,1] neg_lo:[1,0,0] neg_hi:[1,0,0]
	v_pk_add_f32 v[4:5], v[180:181], v[182:183] neg_lo:[0,1] neg_hi:[0,1]
	ds_write_b64 v12, v[8:9] offset:48
	v_pk_mul_f32 v[4:5], v[4:5], s[2:3] op_sel_hi:[1,0]
	s_nop 0
	v_pk_add_f32 v[8:9], v[0:1], v[4:5] op_sel:[0,1] op_sel_hi:[1,0] neg_lo:[0,1] neg_hi:[0,1]
	v_pk_add_f32 v[0:1], v[0:1], v[4:5] op_sel:[0,1] op_sel_hi:[1,0]
	v_mov_b32_e32 v4, v8
	v_mov_b32_e32 v5, v1
	v_accvgpr_read_b32 v8, a11
	v_mov_b32_e32 v1, v9
	ds_write2_b64 v8, v[2:3], v[4:5] offset1:3
	ds_write_b64 v8, v[0:1] offset:48
	v_pk_add_f32 v[0:1], v[176:177], v[178:179]
	v_pk_add_f32 v[2:3], v[176:177], v[178:179] neg_lo:[0,1] neg_hi:[0,1]
	v_pk_fma_f32 v[0:1], v[0:1], 0.5, v[6:7] op_sel_hi:[1,0,1] neg_lo:[1,0,0] neg_hi:[1,0,0]
	v_pk_mul_f32 v[2:3], v[2:3], s[2:3] op_sel_hi:[1,0]
	s_nop 0
	v_pk_add_f32 v[4:5], v[0:1], v[2:3] op_sel:[0,1] op_sel_hi:[1,0] neg_lo:[0,1] neg_hi:[0,1]
	v_pk_add_f32 v[0:1], v[0:1], v[2:3] op_sel:[0,1] op_sel_hi:[1,0]
	v_mov_b32_e32 v2, v4
	v_mov_b32_e32 v3, v1
	v_accvgpr_read_b32 v4, a13
	v_mov_b32_e32 v1, v5
	ds_write_b64 v4, v[0:1] offset:48
	v_pk_add_f32 v[0:1], v[112:113], v[136:137]
	ds_write2_b64 v4, v[134:135], v[2:3] offset1:3
	v_pk_add_f32 v[0:1], v[0:1], v[138:139]
	v_mov_b32_e32 v2, v164
	v_mov_b32_e32 v3, v105
	v_accvgpr_read_b32 v4, a14
	v_mov_b32_e32 v105, v165
	ds_write2_b64 v4, v[0:1], v[2:3] offset1:3
	ds_write_b64 v4, v[104:105] offset:48
	s_waitcnt lgkmcnt(0)
	; wave barrier
	s_waitcnt lgkmcnt(0)
	ds_read2_b64 v[0:3], v128 offset0:124 offset1:187
	ds_read2_b64 v[4:7], v130 offset0:120 offset1:183
	ds_read_b64 v[8:9], v140 offset:7056
	s_waitcnt lgkmcnt(1)
	v_pk_mul_f32 v[10:11], v[228:229], v[6:7]
	s_nop 0
	v_pk_fma_f32 v[104:105], v[20:21], v[6:7], v[10:11] op_sel:[0,0,1] op_sel_hi:[1,1,0]
	v_pk_fma_f32 v[6:7], v[20:21], v[6:7], v[10:11] op_sel:[0,0,1] op_sel_hi:[1,1,0] neg_lo:[0,0,1] neg_hi:[0,0,1]
	v_pk_mul_f32 v[14:15], v[226:227], v[4:5]
	v_mov_b32_e32 v105, v7
	s_waitcnt lgkmcnt(0)
	v_pk_mul_f32 v[6:7], v[194:195], v[8:9]
	v_pk_fma_f32 v[124:125], v[24:25], v[4:5], v[14:15] op_sel:[0,0,1] op_sel_hi:[1,1,0]
	v_pk_fma_f32 v[112:113], v[22:23], v[8:9], v[6:7] op_sel:[0,0,1] op_sel_hi:[1,1,0]
	v_pk_fma_f32 v[6:7], v[22:23], v[8:9], v[6:7] op_sel:[0,0,1] op_sel_hi:[1,1,0] neg_lo:[0,0,1] neg_hi:[0,0,1]
	v_pk_fma_f32 v[4:5], v[24:25], v[4:5], v[14:15] op_sel:[0,0,1] op_sel_hi:[1,1,0] neg_lo:[0,0,1] neg_hi:[0,0,1]
	v_mov_b32_e32 v113, v7
	v_pk_add_f32 v[6:7], v[104:105], v[112:113]
	v_pk_add_f32 v[8:9], v[104:105], v[112:113] neg_lo:[0,1] neg_hi:[0,1]
	v_pk_fma_f32 v[6:7], v[6:7], 0.5, v[0:1] op_sel_hi:[1,0,1] neg_lo:[1,0,0] neg_hi:[1,0,0]
	v_pk_mul_f32 v[8:9], v[8:9], s[2:3] op_sel_hi:[1,0]
	v_mov_b32_e32 v125, v5
	v_pk_add_f32 v[22:23], v[6:7], v[8:9] op_sel:[0,1] op_sel_hi:[1,0]
	v_pk_add_f32 v[114:115], v[6:7], v[8:9] op_sel:[0,1] op_sel_hi:[1,0] neg_lo:[0,1] neg_hi:[0,1]
	ds_read2_b64 v[6:9], v140 offset0:126 offset1:189
	ds_read2_b64 v[10:13], v129 offset0:116 offset1:179
	v_pk_add_f32 v[0:1], v[0:1], v[104:105]
	s_waitcnt lgkmcnt(0)
	v_pk_mul_f32 v[4:5], v[192:193], v[12:13]
	s_nop 0
	v_pk_fma_f32 v[24:25], v[26:27], v[12:13], v[4:5] op_sel:[0,0,1] op_sel_hi:[1,1,0]
	v_pk_fma_f32 v[4:5], v[26:27], v[12:13], v[4:5] op_sel:[0,0,1] op_sel_hi:[1,1,0] neg_lo:[0,0,1] neg_hi:[0,0,1]
	ds_read2_b64 v[12:15], v107 offset0:122 offset1:185
	v_mov_b32_e32 v25, v5
	v_pk_add_f32 v[4:5], v[8:9], v[124:125]
	v_pk_add_f32 v[0:1], v[0:1], v[112:113]
	;; [unrolled: 1-line block ×3, first 2 shown]
	s_waitcnt lgkmcnt(0)
	v_pk_mul_f32 v[16:17], v[224:225], v[14:15]
	s_nop 0
	v_pk_fma_f32 v[26:27], v[28:29], v[14:15], v[16:17] op_sel:[0,0,1] op_sel_hi:[1,1,0]
	v_pk_fma_f32 v[14:15], v[28:29], v[14:15], v[16:17] op_sel:[0,0,1] op_sel_hi:[1,1,0] neg_lo:[0,0,1] neg_hi:[0,0,1]
	s_nop 0
	v_mov_b32_e32 v27, v15
	v_pk_mul_f32 v[14:15], v[240:241], v[10:11]
	s_nop 0
	v_pk_fma_f32 v[28:29], v[30:31], v[10:11], v[14:15] op_sel:[0,0,1] op_sel_hi:[1,1,0]
	v_pk_fma_f32 v[10:11], v[30:31], v[10:11], v[14:15] op_sel:[0,0,1] op_sel_hi:[1,1,0] neg_lo:[0,0,1] neg_hi:[0,0,1]
	ds_read2_b64 v[14:17], v140 offset1:63
	ds_read2_b64 v[18:21], v90 offset0:118 offset1:181
	v_pk_mul_f32 v[30:31], v[222:223], v[12:13]
	s_waitcnt lgkmcnt(0)
	v_pk_fma_f32 v[126:127], v[32:33], v[12:13], v[30:31] op_sel:[0,0,1] op_sel_hi:[1,1,0]
	v_pk_fma_f32 v[12:13], v[32:33], v[12:13], v[30:31] op_sel:[0,0,1] op_sel_hi:[1,1,0] neg_lo:[0,0,1] neg_hi:[0,0,1]
	; wave barrier
	s_nop 0
	v_mov_b32_e32 v127, v13
	v_pk_mul_f32 v[12:13], v[218:219], v[20:21]
	v_mov_b32_e32 v29, v11
	v_pk_fma_f32 v[30:31], v[34:35], v[20:21], v[12:13] op_sel:[0,0,1] op_sel_hi:[1,1,0]
	v_pk_fma_f32 v[12:13], v[34:35], v[20:21], v[12:13] op_sel:[0,0,1] op_sel_hi:[1,1,0] neg_lo:[0,0,1] neg_hi:[0,0,1]
	v_pk_mul_f32 v[20:21], v[220:221], v[2:3]
	v_mov_b32_e32 v31, v13
	v_pk_fma_f32 v[32:33], v[36:37], v[2:3], v[20:21] op_sel:[0,0,1] op_sel_hi:[1,1,0]
	v_pk_fma_f32 v[2:3], v[36:37], v[2:3], v[20:21] op_sel:[0,0,1] op_sel_hi:[1,1,0] neg_lo:[0,0,1] neg_hi:[0,0,1]
	v_pk_add_f32 v[12:13], v[16:17], v[126:127]
	v_mov_b32_e32 v33, v3
	v_pk_mul_f32 v[2:3], v[248:249], v[18:19]
	v_pk_add_f32 v[10:11], v[6:7], v[26:27]
	v_pk_fma_f32 v[20:21], v[38:39], v[18:19], v[2:3] op_sel:[0,0,1] op_sel_hi:[1,1,0]
	v_pk_fma_f32 v[2:3], v[38:39], v[18:19], v[2:3] op_sel:[0,0,1] op_sel_hi:[1,1,0] neg_lo:[0,0,1] neg_hi:[0,0,1]
	v_pk_add_f32 v[12:13], v[12:13], v[30:31]
	v_mov_b32_e32 v21, v3
	v_pk_add_f32 v[18:19], v[32:33], v[20:21]
	v_pk_add_f32 v[2:3], v[14:15], v[32:33]
	v_pk_fma_f32 v[14:15], v[18:19], 0.5, v[14:15] op_sel_hi:[1,0,1] neg_lo:[1,0,0] neg_hi:[1,0,0]
	v_pk_add_f32 v[18:19], v[32:33], v[20:21] neg_lo:[0,1] neg_hi:[0,1]
	v_pk_add_f32 v[2:3], v[2:3], v[20:21]
	v_pk_mul_f32 v[18:19], v[18:19], s[2:3] op_sel_hi:[1,0]
	v_pk_add_f32 v[10:11], v[10:11], v[28:29]
	v_pk_add_f32 v[20:21], v[14:15], v[18:19] op_sel:[0,1] op_sel_hi:[1,0] neg_lo:[0,1] neg_hi:[0,1]
	v_pk_add_f32 v[14:15], v[14:15], v[18:19] op_sel:[0,1] op_sel_hi:[1,0]
	v_mov_b32_e32 v18, v20
	v_mov_b32_e32 v19, v15
	v_accvgpr_read_b32 v20, a15
	v_mov_b32_e32 v15, v21
	ds_write2_b64 v20, v[2:3], v[18:19] offset1:9
	ds_write_b64 v20, v[14:15] offset:144
	v_pk_add_f32 v[2:3], v[126:127], v[30:31]
	v_pk_add_f32 v[14:15], v[126:127], v[30:31] neg_lo:[0,1] neg_hi:[0,1]
	v_pk_fma_f32 v[2:3], v[2:3], 0.5, v[16:17] op_sel_hi:[1,0,1] neg_lo:[1,0,0] neg_hi:[1,0,0]
	v_pk_mul_f32 v[14:15], v[14:15], s[2:3] op_sel_hi:[1,0]
	v_accvgpr_read_b32 v18, a34
	v_pk_add_f32 v[16:17], v[2:3], v[14:15] op_sel:[0,1] op_sel_hi:[1,0] neg_lo:[0,1] neg_hi:[0,1]
	v_pk_add_f32 v[2:3], v[2:3], v[14:15] op_sel:[0,1] op_sel_hi:[1,0]
	v_mov_b32_e32 v14, v16
	v_mov_b32_e32 v15, v3
	v_accvgpr_read_b32 v16, a17
	v_mov_b32_e32 v3, v17
	ds_write_b64 v16, v[2:3] offset:144
	v_pk_add_f32 v[2:3], v[26:27], v[28:29]
	ds_write2_b64 v16, v[12:13], v[14:15] offset1:9
	v_pk_fma_f32 v[2:3], v[2:3], 0.5, v[6:7] op_sel_hi:[1,0,1] neg_lo:[1,0,0] neg_hi:[1,0,0]
	v_pk_add_f32 v[6:7], v[26:27], v[28:29] neg_lo:[0,1] neg_hi:[0,1]
	v_accvgpr_read_b32 v19, a35
	v_pk_mul_f32 v[6:7], v[6:7], s[2:3] op_sel_hi:[1,0]
	s_nop 0
	v_pk_add_f32 v[12:13], v[2:3], v[6:7] op_sel:[0,1] op_sel_hi:[1,0] neg_lo:[0,1] neg_hi:[0,1]
	v_pk_add_f32 v[2:3], v[2:3], v[6:7] op_sel:[0,1] op_sel_hi:[1,0]
	v_mov_b32_e32 v6, v12
	v_mov_b32_e32 v7, v3
	v_accvgpr_read_b32 v12, a19
	v_mov_b32_e32 v3, v13
	ds_write2_b64 v12, v[10:11], v[6:7] offset1:9
	ds_write_b64 v12, v[2:3] offset:144
	v_pk_add_f32 v[2:3], v[124:125], v[24:25]
	v_pk_add_f32 v[6:7], v[124:125], v[24:25] neg_lo:[0,1] neg_hi:[0,1]
	v_pk_fma_f32 v[2:3], v[2:3], 0.5, v[8:9] op_sel_hi:[1,0,1] neg_lo:[1,0,0] neg_hi:[1,0,0]
	v_pk_mul_f32 v[6:7], v[6:7], s[2:3] op_sel_hi:[1,0]
	s_mov_b32 s2, 0x3f737871
	v_pk_add_f32 v[8:9], v[2:3], v[6:7] op_sel:[0,1] op_sel_hi:[1,0] neg_lo:[0,1] neg_hi:[0,1]
	v_pk_add_f32 v[2:3], v[2:3], v[6:7] op_sel:[0,1] op_sel_hi:[1,0]
	v_mov_b32_e32 v6, v8
	v_mov_b32_e32 v7, v3
	;; [unrolled: 1-line block ×3, first 2 shown]
	ds_write_b64 v167, v[2:3] offset:144
	v_mov_b32_e32 v2, v114
	v_mov_b32_e32 v3, v23
	;; [unrolled: 1-line block ×3, first 2 shown]
	ds_write2_b64 v167, v[4:5], v[6:7] offset1:9
	ds_write2_b64 v251, v[0:1], v[2:3] offset1:9
	ds_write_b64 v251, v[22:23] offset:144
	s_waitcnt lgkmcnt(0)
	; wave barrier
	s_waitcnt lgkmcnt(0)
	ds_read2_b64 v[0:3], v140 offset0:126 offset1:189
	ds_read2_b64 v[4:7], v128 offset0:124 offset1:187
	;; [unrolled: 1-line block ×4, first 2 shown]
	ds_read_b64 v[16:17], v140 offset:7056
	s_waitcnt lgkmcnt(3)
	v_pk_mul_f32 v[18:19], v[18:19], v[6:7]
	s_nop 0
	v_pk_fma_f32 v[22:23], v[44:45], v[6:7], v[18:19] op_sel:[0,0,1] op_sel_hi:[1,1,0]
	v_pk_fma_f32 v[6:7], v[44:45], v[6:7], v[18:19] op_sel:[0,0,1] op_sel_hi:[1,1,0] neg_lo:[0,0,1] neg_hi:[0,0,1]
	v_accvgpr_read_b32 v45, a31
	v_mov_b32_e32 v23, v7
	s_waitcnt lgkmcnt(2)
	v_pk_mul_f32 v[6:7], v[204:205], v[8:9]
	v_accvgpr_read_b32 v44, a30
	v_pk_fma_f32 v[24:25], v[46:47], v[8:9], v[6:7] op_sel:[0,0,1] op_sel_hi:[1,1,0]
	v_pk_fma_f32 v[6:7], v[46:47], v[8:9], v[6:7] op_sel:[0,0,1] op_sel_hi:[1,1,0] neg_lo:[0,0,1] neg_hi:[0,0,1]
	v_pk_mul_f32 v[44:45], v[44:45], v[4:5]
	v_mov_b32_e32 v25, v7
	v_accvgpr_read_b32 v6, a32
	v_accvgpr_read_b32 v7, a33
	s_waitcnt lgkmcnt(1)
	v_pk_mul_f32 v[6:7], v[6:7], v[14:15]
	v_pk_add_f32 v[8:9], v[22:23], v[24:25] neg_lo:[0,1] neg_hi:[0,1]
	v_pk_fma_f32 v[26:27], v[60:61], v[14:15], v[6:7] op_sel:[0,0,1] op_sel_hi:[1,1,0]
	v_pk_fma_f32 v[6:7], v[60:61], v[14:15], v[6:7] op_sel:[0,0,1] op_sel_hi:[1,1,0] neg_lo:[0,0,1] neg_hi:[0,0,1]
	v_pk_fma_f32 v[46:47], v[40:41], v[4:5], v[44:45] op_sel:[0,0,1] op_sel_hi:[1,1,0]
	v_mov_b32_e32 v27, v7
	s_waitcnt lgkmcnt(0)
	v_pk_mul_f32 v[6:7], v[206:207], v[16:17]
	v_pk_add_f32 v[32:33], v[24:25], v[26:27] neg_lo:[0,1] neg_hi:[0,1]
	v_pk_fma_f32 v[28:29], v[62:63], v[16:17], v[6:7] op_sel:[0,0,1] op_sel_hi:[1,1,0]
	v_pk_fma_f32 v[6:7], v[62:63], v[16:17], v[6:7] op_sel:[0,0,1] op_sel_hi:[1,1,0] neg_lo:[0,0,1] neg_hi:[0,0,1]
	v_pk_fma_f32 v[4:5], v[40:41], v[4:5], v[44:45] op_sel:[0,0,1] op_sel_hi:[1,1,0] neg_lo:[0,0,1] neg_hi:[0,0,1]
	v_mov_b32_e32 v29, v7
	v_pk_add_f32 v[6:7], v[24:25], v[26:27]
	v_pk_add_f32 v[30:31], v[22:23], v[28:29] neg_lo:[0,1] neg_hi:[0,1]
	v_pk_fma_f32 v[6:7], v[6:7], 0.5, v[0:1] op_sel_hi:[1,0,1] neg_lo:[1,0,0] neg_hi:[1,0,0]
	v_pk_add_f32 v[14:15], v[28:29], v[26:27] neg_lo:[0,1] neg_hi:[0,1]
	v_mov_b32_e32 v47, v5
	v_pk_add_f32 v[34:35], v[8:9], v[14:15]
	v_pk_fma_f32 v[8:9], v[30:31], s[2:3], v[6:7] op_sel:[1,0,0] op_sel_hi:[0,0,1]
	v_pk_fma_f32 v[6:7], v[30:31], s[2:3], v[6:7] op_sel:[1,0,0] op_sel_hi:[0,0,1] neg_lo:[1,0,0] neg_hi:[1,0,0]
	v_pk_fma_f32 v[36:37], v[32:33], s[10:11], v[6:7] op_sel:[1,0,0] op_sel_hi:[0,0,1] neg_lo:[1,0,0] neg_hi:[1,0,0]
	v_pk_fma_f32 v[38:39], v[32:33], s[10:11], v[8:9] op_sel:[1,0,0] op_sel_hi:[0,0,1]
	v_mov_b32_e32 v6, v38
	v_mov_b32_e32 v7, v37
	v_pk_fma_f32 v[104:105], v[34:35], s[8:9], v[6:7] op_sel_hi:[1,0,1]
	ds_read2_b64 v[6:9], v140 offset1:63
	ds_read2_b64 v[14:17], v107 offset0:122 offset1:185
	ds_read2_b64 v[18:21], v129 offset0:116 offset1:179
	s_waitcnt lgkmcnt(0)
	; wave barrier
	s_waitcnt lgkmcnt(0)
	v_mov_b32_e32 v37, v39
	v_pk_mul_f32 v[4:5], v[198:199], v[16:17]
	s_nop 0
	v_pk_fma_f32 v[40:41], v[42:43], v[16:17], v[4:5] op_sel:[0,0,1] op_sel_hi:[1,1,0]
	v_pk_fma_f32 v[4:5], v[42:43], v[16:17], v[4:5] op_sel:[0,0,1] op_sel_hi:[1,1,0] neg_lo:[0,0,1] neg_hi:[0,0,1]
	s_nop 0
	v_mov_b32_e32 v41, v5
	v_accvgpr_read_b32 v4, a22
	v_accvgpr_read_b32 v5, a23
	v_pk_mul_f32 v[4:5], v[4:5], v[12:13]
	s_nop 0
	v_pk_fma_f32 v[16:17], v[48:49], v[12:13], v[4:5] op_sel:[0,0,1] op_sel_hi:[1,1,0]
	v_pk_fma_f32 v[4:5], v[48:49], v[12:13], v[4:5] op_sel:[0,0,1] op_sel_hi:[1,1,0] neg_lo:[0,0,1] neg_hi:[0,0,1]
	s_nop 0
	v_mov_b32_e32 v17, v5
	v_pk_mul_f32 v[4:5], v[202:203], v[20:21]
	s_nop 0
	v_pk_fma_f32 v[12:13], v[50:51], v[20:21], v[4:5] op_sel:[0,0,1] op_sel_hi:[1,1,0]
	v_pk_fma_f32 v[4:5], v[50:51], v[20:21], v[4:5] op_sel:[0,0,1] op_sel_hi:[1,1,0] neg_lo:[0,0,1] neg_hi:[0,0,1]
	v_accvgpr_read_b32 v20, a20
	v_accvgpr_read_b32 v21, a21
	v_pk_mul_f32 v[20:21], v[20:21], v[2:3]
	v_mov_b32_e32 v13, v5
	v_pk_fma_f32 v[42:43], v[52:53], v[2:3], v[20:21] op_sel:[0,0,1] op_sel_hi:[1,1,0]
	v_pk_fma_f32 v[2:3], v[52:53], v[2:3], v[20:21] op_sel:[0,0,1] op_sel_hi:[1,1,0] neg_lo:[0,0,1] neg_hi:[0,0,1]
	v_pk_add_f32 v[4:5], v[8:9], v[46:47]
	v_mov_b32_e32 v43, v3
	v_pk_mul_f32 v[2:3], v[196:197], v[14:15]
	v_pk_add_f32 v[4:5], v[4:5], v[40:41]
	v_pk_fma_f32 v[20:21], v[54:55], v[14:15], v[2:3] op_sel:[0,0,1] op_sel_hi:[1,1,0]
	v_pk_fma_f32 v[2:3], v[54:55], v[14:15], v[2:3] op_sel:[0,0,1] op_sel_hi:[1,1,0] neg_lo:[0,0,1] neg_hi:[0,0,1]
	v_pk_add_f32 v[4:5], v[4:5], v[16:17]
	v_mov_b32_e32 v21, v3
	v_pk_mul_f32 v[2:3], v[254:255], v[10:11]
	v_pk_add_f32 v[54:55], v[42:43], v[20:21] neg_lo:[0,1] neg_hi:[0,1]
	v_pk_fma_f32 v[14:15], v[56:57], v[10:11], v[2:3] op_sel:[0,0,1] op_sel_hi:[1,1,0]
	v_pk_fma_f32 v[2:3], v[56:57], v[10:11], v[2:3] op_sel:[0,0,1] op_sel_hi:[1,1,0] neg_lo:[0,0,1] neg_hi:[0,0,1]
	v_pk_add_f32 v[4:5], v[4:5], v[12:13]
	v_mov_b32_e32 v15, v3
	v_pk_mul_f32 v[2:3], v[200:201], v[18:19]
	v_pk_add_f32 v[50:51], v[20:21], v[14:15] neg_lo:[0,1] neg_hi:[0,1]
	v_pk_fma_f32 v[10:11], v[58:59], v[18:19], v[2:3] op_sel:[0,0,1] op_sel_hi:[1,1,0]
	v_pk_fma_f32 v[2:3], v[58:59], v[18:19], v[2:3] op_sel:[0,0,1] op_sel_hi:[1,1,0] neg_lo:[0,0,1] neg_hi:[0,0,1]
	v_pk_add_f32 v[18:19], v[20:21], v[14:15]
	v_mov_b32_e32 v11, v3
	v_pk_add_f32 v[44:45], v[42:43], v[10:11] neg_lo:[0,1] neg_hi:[0,1]
	v_pk_fma_f32 v[18:19], v[18:19], 0.5, v[6:7] op_sel_hi:[1,0,1] neg_lo:[1,0,0] neg_hi:[1,0,0]
	v_pk_mul_f32 v[48:49], v[44:45], s[2:3] op_sel_hi:[1,0]
	v_pk_add_f32 v[56:57], v[10:11], v[14:15] neg_lo:[0,1] neg_hi:[0,1]
	v_pk_add_f32 v[2:3], v[6:7], v[42:43]
	v_pk_mul_f32 v[52:53], v[50:51], s[10:11] op_sel_hi:[1,0]
	v_pk_add_f32 v[54:55], v[54:55], v[56:57]
	v_pk_add_f32 v[56:57], v[18:19], v[48:49] op_sel:[0,1] op_sel_hi:[1,0] neg_lo:[0,1] neg_hi:[0,1]
	v_pk_add_f32 v[18:19], v[18:19], v[48:49] op_sel:[0,1] op_sel_hi:[1,0]
	v_pk_add_f32 v[2:3], v[2:3], v[20:21]
	v_pk_add_f32 v[18:19], v[18:19], v[52:53] op_sel:[0,1] op_sel_hi:[1,0]
	v_pk_add_f32 v[48:49], v[56:57], v[52:53] op_sel:[0,1] op_sel_hi:[1,0] neg_lo:[0,1] neg_hi:[0,1]
	v_pk_add_f32 v[2:3], v[2:3], v[14:15]
	v_mov_b32_e32 v52, v48
	v_mov_b32_e32 v53, v19
	v_pk_add_f32 v[2:3], v[2:3], v[10:11]
	v_pk_fma_f32 v[52:53], v[54:55], s[8:9], v[52:53] op_sel_hi:[1,0,1]
	ds_write2_b64 v253, v[2:3], v[52:53] offset1:27
	v_pk_add_f32 v[2:3], v[42:43], v[10:11]
	v_pk_add_f32 v[10:11], v[14:15], v[10:11] neg_lo:[0,1] neg_hi:[0,1]
	v_pk_fma_f32 v[2:3], v[2:3], 0.5, v[6:7] op_sel_hi:[1,0,1] neg_lo:[1,0,0] neg_hi:[1,0,0]
	v_pk_add_f32 v[6:7], v[20:21], v[42:43] neg_lo:[0,1] neg_hi:[0,1]
	v_pk_mul_f32 v[14:15], v[44:45], s[10:11] op_sel_hi:[1,0]
	v_pk_add_f32 v[6:7], v[6:7], v[10:11]
	v_pk_mul_f32 v[10:11], v[50:51], s[2:3] op_sel_hi:[1,0]
	v_mov_b32_e32 v19, v49
	v_pk_add_f32 v[20:21], v[2:3], v[10:11] op_sel:[0,1] op_sel_hi:[1,0]
	v_pk_add_f32 v[2:3], v[2:3], v[10:11] op_sel:[0,1] op_sel_hi:[1,0] neg_lo:[0,1] neg_hi:[0,1]
	v_pk_add_f32 v[10:11], v[20:21], v[14:15] op_sel:[0,1] op_sel_hi:[1,0] neg_lo:[0,1] neg_hi:[0,1]
	v_pk_add_f32 v[2:3], v[2:3], v[14:15] op_sel:[0,1] op_sel_hi:[1,0]
	v_mov_b32_e32 v14, v10
	v_mov_b32_e32 v15, v3
	;; [unrolled: 1-line block ×3, first 2 shown]
	v_pk_fma_f32 v[14:15], v[6:7], s[8:9], v[14:15] op_sel_hi:[1,0,1]
	v_pk_fma_f32 v[2:3], v[6:7], s[8:9], v[2:3] op_sel_hi:[1,0,1]
	ds_write2_b64 v253, v[14:15], v[2:3] offset0:54 offset1:81
	v_pk_fma_f32 v[2:3], v[54:55], s[8:9], v[18:19] op_sel_hi:[1,0,1]
	ds_write_b64 v253, v[2:3] offset:864
	v_pk_add_f32 v[2:3], v[40:41], v[16:17]
	v_pk_add_f32 v[6:7], v[46:47], v[12:13] neg_lo:[0,1] neg_hi:[0,1]
	v_pk_fma_f32 v[2:3], v[2:3], 0.5, v[8:9] op_sel_hi:[1,0,1] neg_lo:[1,0,0] neg_hi:[1,0,0]
	v_pk_mul_f32 v[10:11], v[6:7], s[2:3] op_sel_hi:[1,0]
	v_pk_add_f32 v[14:15], v[40:41], v[16:17] neg_lo:[0,1] neg_hi:[0,1]
	v_pk_add_f32 v[20:21], v[46:47], v[40:41] neg_lo:[0,1] neg_hi:[0,1]
	;; [unrolled: 1-line block ×3, first 2 shown]
	v_pk_mul_f32 v[18:19], v[14:15], s[10:11] op_sel_hi:[1,0]
	v_pk_add_f32 v[20:21], v[20:21], v[42:43]
	v_pk_add_f32 v[42:43], v[2:3], v[10:11] op_sel:[0,1] op_sel_hi:[1,0] neg_lo:[0,1] neg_hi:[0,1]
	v_pk_add_f32 v[2:3], v[2:3], v[10:11] op_sel:[0,1] op_sel_hi:[1,0]
	v_pk_add_f32 v[10:11], v[42:43], v[18:19] op_sel:[0,1] op_sel_hi:[1,0] neg_lo:[0,1] neg_hi:[0,1]
	v_pk_add_f32 v[2:3], v[2:3], v[18:19] op_sel:[0,1] op_sel_hi:[1,0]
	v_mov_b32_e32 v18, v10
	v_mov_b32_e32 v19, v3
	v_pk_fma_f32 v[18:19], v[20:21], s[8:9], v[18:19] op_sel_hi:[1,0,1]
	ds_write2_b64 v141, v[4:5], v[18:19] offset1:27
	v_pk_add_f32 v[4:5], v[46:47], v[12:13]
	v_pk_add_f32 v[12:13], v[16:17], v[12:13] neg_lo:[0,1] neg_hi:[0,1]
	v_pk_fma_f32 v[4:5], v[4:5], 0.5, v[8:9] op_sel_hi:[1,0,1] neg_lo:[1,0,0] neg_hi:[1,0,0]
	v_pk_add_f32 v[8:9], v[40:41], v[46:47] neg_lo:[0,1] neg_hi:[0,1]
	v_mov_b32_e32 v3, v11
	v_pk_add_f32 v[8:9], v[8:9], v[12:13]
	v_pk_mul_f32 v[12:13], v[14:15], s[2:3] op_sel_hi:[1,0]
	v_pk_mul_f32 v[6:7], v[6:7], s[10:11] op_sel_hi:[1,0]
	v_pk_add_f32 v[14:15], v[4:5], v[12:13] op_sel:[0,1] op_sel_hi:[1,0]
	v_pk_add_f32 v[4:5], v[4:5], v[12:13] op_sel:[0,1] op_sel_hi:[1,0] neg_lo:[0,1] neg_hi:[0,1]
	v_pk_fma_f32 v[2:3], v[20:21], s[8:9], v[2:3] op_sel_hi:[1,0,1]
	v_pk_add_f32 v[4:5], v[4:5], v[6:7] op_sel:[0,1] op_sel_hi:[1,0]
	v_pk_add_f32 v[6:7], v[14:15], v[6:7] op_sel:[0,1] op_sel_hi:[1,0] neg_lo:[0,1] neg_hi:[0,1]
	ds_write_b64 v141, v[2:3] offset:864
	v_pk_add_f32 v[2:3], v[0:1], v[22:23]
	v_mov_b32_e32 v12, v6
	v_mov_b32_e32 v13, v5
	;; [unrolled: 1-line block ×3, first 2 shown]
	v_pk_add_f32 v[2:3], v[2:3], v[24:25]
	v_pk_fma_f32 v[12:13], v[8:9], s[8:9], v[12:13] op_sel_hi:[1,0,1]
	v_pk_fma_f32 v[4:5], v[8:9], s[8:9], v[4:5] op_sel_hi:[1,0,1]
	v_pk_add_f32 v[2:3], v[2:3], v[26:27]
	ds_write2_b64 v141, v[12:13], v[4:5] offset0:54 offset1:81
	v_pk_add_f32 v[2:3], v[2:3], v[28:29]
	v_pk_fma_f32 v[4:5], v[34:35], s[8:9], v[36:37] op_sel_hi:[1,0,1]
	ds_write2_b64 v243, v[2:3], v[4:5] offset1:27
	v_pk_add_f32 v[2:3], v[22:23], v[28:29]
	v_pk_add_f32 v[4:5], v[26:27], v[28:29] neg_lo:[0,1] neg_hi:[0,1]
	v_pk_fma_f32 v[0:1], v[2:3], 0.5, v[0:1] op_sel_hi:[1,0,1] neg_lo:[1,0,0] neg_hi:[1,0,0]
	v_pk_add_f32 v[2:3], v[24:25], v[22:23] neg_lo:[0,1] neg_hi:[0,1]
	s_nop 0
	v_pk_add_f32 v[2:3], v[2:3], v[4:5]
	v_pk_fma_f32 v[4:5], v[32:33], s[2:3], v[0:1] op_sel:[1,0,0] op_sel_hi:[0,0,1]
	v_pk_fma_f32 v[0:1], v[32:33], s[2:3], v[0:1] op_sel:[1,0,0] op_sel_hi:[0,0,1] neg_lo:[1,0,0] neg_hi:[1,0,0]
	v_pk_fma_f32 v[0:1], v[30:31], s[10:11], v[0:1] op_sel:[1,0,0] op_sel_hi:[0,0,1]
	v_pk_fma_f32 v[4:5], v[30:31], s[10:11], v[4:5] op_sel:[1,0,0] op_sel_hi:[0,0,1] neg_lo:[1,0,0] neg_hi:[1,0,0]
	v_mov_b32_e32 v6, v4
	v_mov_b32_e32 v7, v1
	;; [unrolled: 1-line block ×3, first 2 shown]
	v_pk_fma_f32 v[6:7], v[2:3], s[8:9], v[6:7] op_sel_hi:[1,0,1]
	v_pk_fma_f32 v[0:1], v[2:3], s[8:9], v[0:1] op_sel_hi:[1,0,1]
	ds_write2_b64 v243, v[6:7], v[0:1] offset0:54 offset1:81
	ds_write_b64 v243, v[104:105] offset:864
	s_waitcnt lgkmcnt(0)
	; wave barrier
	s_waitcnt lgkmcnt(0)
	ds_read2_b64 v[0:3], v140 offset1:63
	ds_read2_b64 v[12:15], v140 offset0:135 offset1:198
	ds_read2_b64 v[4:7], v107 offset0:14 offset1:77
	;; [unrolled: 1-line block ×6, first 2 shown]
	s_and_saveexec_b64 s[2:3], s[0:1]
	s_xor_b64 s[0:1], exec, s[2:3]
	s_andn2_saveexec_b64 s[0:1], s[0:1]
	s_cbranch_execz .LBB0_7
; %bb.6:
	v_add_u32_e32 v28, 0xc00, v140
	ds_read2_b64 v[108:111], v28 offset0:12 offset1:147
	v_add_u32_e32 v28, 0x1400, v140
	ds_read2_b64 v[88:91], v28 offset0:26 offset1:161
	v_add_u32_e32 v28, 0x200, v140
	ds_read_b64 v[118:119], v140 offset:7488
	ds_read2_b64 v[104:107], v28 offset0:62 offset1:197
	s_waitcnt lgkmcnt(3)
	v_mov_b32_e32 v120, v111
	v_mov_b32_e32 v122, v108
	s_waitcnt lgkmcnt(2)
	v_mov_b32_e32 v121, v91
	s_waitcnt lgkmcnt(1)
	v_mov_b32_e32 v123, v119
	v_mov_b32_e32 v111, v90
	v_mov_b32_e32 v119, v109
	s_waitcnt lgkmcnt(0)
	v_mov_b32_e32 v91, v107
.LBB0_7:
	s_or_b64 exec, exec, s[0:1]
	s_waitcnt lgkmcnt(5)
	v_pk_mul_f32 v[28:29], v[92:93], v[12:13] op_sel_hi:[1,0]
	v_mov_b32_e32 v30, v13
	s_waitcnt lgkmcnt(3)
	v_pk_mul_f32 v[40:41], v[100:101], v[24:25] op_sel:[0,1] op_sel_hi:[1,0]
	s_waitcnt lgkmcnt(2)
	v_pk_mul_f32 v[44:45], v[102:103], v[20:21] op_sel:[0,1] op_sel_hi:[1,0]
	v_pk_mul_f32 v[32:33], v[94:95], v[4:5] op_sel_hi:[1,0]
	v_mov_b32_e32 v34, v5
	v_mov_b32_e32 v38, v101
	;; [unrolled: 1-line block ×5, first 2 shown]
	v_pk_fma_f32 v[30:31], v[92:93], v[30:31], v[28:29] op_sel:[0,0,1] op_sel_hi:[1,1,0] neg_lo:[0,0,1] neg_hi:[0,0,1]
	v_pk_fma_f32 v[12:13], v[92:93], v[12:13], v[28:29] op_sel:[0,1,1] op_sel_hi:[1,1,0]
	v_pk_mul_f32 v[36:37], v[100:101], v[24:25]
	v_pk_mul_f32 v[38:39], v[38:39], v[24:25] op_sel:[0,1] op_sel_hi:[1,0]
	v_pk_fma_f32 v[24:25], v[100:101], v[24:25], v[40:41] op_sel:[0,1,0] op_sel_hi:[1,0,1] neg_lo:[0,0,1] neg_hi:[0,0,1]
	v_pk_mul_f32 v[40:41], v[102:103], v[20:21]
	v_pk_mul_f32 v[42:43], v[42:43], v[20:21] op_sel:[0,1] op_sel_hi:[1,0]
	v_pk_fma_f32 v[20:21], v[102:103], v[20:21], v[44:45] op_sel:[0,1,0] op_sel_hi:[1,0,1] neg_lo:[0,0,1] neg_hi:[0,0,1]
	s_waitcnt lgkmcnt(1)
	v_pk_mul_f32 v[44:45], v[64:65], v[16:17] op_sel_hi:[1,0]
	v_mov_b32_e32 v46, v17
	v_mov_b32_e32 v31, v13
	v_pk_fma_f32 v[12:13], v[94:95], v[34:35], v[32:33] op_sel:[0,0,1] op_sel_hi:[1,1,0] neg_lo:[0,0,1] neg_hi:[0,0,1]
	v_pk_fma_f32 v[4:5], v[94:95], v[4:5], v[32:33] op_sel:[0,1,1] op_sel_hi:[1,1,0]
	s_waitcnt lgkmcnt(0)
	v_pk_mul_f32 v[48:49], v[66:67], v[8:9] op_sel_hi:[1,0]
	v_mov_b32_e32 v50, v9
	v_mov_b32_e32 v13, v5
	v_pk_fma_f32 v[4:5], v[64:65], v[46:47], v[44:45] op_sel:[0,0,1] op_sel_hi:[1,1,0] neg_lo:[0,0,1] neg_hi:[0,0,1]
	v_pk_fma_f32 v[16:17], v[64:65], v[16:17], v[44:45] op_sel:[0,1,1] op_sel_hi:[1,1,0]
	v_pk_fma_f32 v[8:9], v[66:67], v[8:9], v[48:49] op_sel:[0,1,1] op_sel_hi:[1,1,0]
	v_mov_b32_e32 v5, v17
	v_pk_fma_f32 v[16:17], v[66:67], v[50:51], v[48:49] op_sel:[0,0,1] op_sel_hi:[1,1,0] neg_lo:[0,0,1] neg_hi:[0,0,1]
	v_mov_b32_e32 v41, v30
	v_mov_b32_e32 v17, v9
	;; [unrolled: 1-line block ×5, first 2 shown]
	v_pk_add_f32 v[8:9], v[30:31], v[16:17]
	v_pk_add_f32 v[28:29], v[30:31], v[16:17] neg_lo:[0,1] neg_hi:[0,1]
	v_pk_add_f32 v[32:33], v[12:13], v[4:5]
	v_pk_add_f32 v[34:35], v[12:13], v[4:5] neg_lo:[0,1] neg_hi:[0,1]
	v_pk_add_f32 v[16:17], v[40:41], v[42:43]
	v_pk_add_f32 v[4:5], v[36:37], v[38:39]
	v_mov_b32_e32 v21, v16
	v_mov_b32_e32 v25, v4
	v_pk_add_f32 v[12:13], v[20:21], v[24:25] neg_lo:[0,1] neg_hi:[0,1]
	v_mov_b32_e32 v40, v33
	v_mov_b32_e32 v41, v24
	;; [unrolled: 1-line block ×8, first 2 shown]
	s_mov_b32 s2, 0x3f08b237
	v_pk_add_f32 v[20:21], v[40:41], v[24:25]
	v_pk_add_f32 v[24:25], v[4:5], v[16:17]
	v_pk_add_f32 v[30:31], v[30:31], v[36:37] neg_lo:[0,1] neg_hi:[0,1]
	s_mov_b32 s3, 0xbeae86e6
	v_mov_b32_e32 v36, v28
	v_mov_b32_e32 v38, v12
	;; [unrolled: 1-line block ×8, first 2 shown]
	v_pk_add_f32 v[36:37], v[36:37], v[38:39] neg_lo:[0,1] neg_hi:[0,1]
	s_mov_b32 s14, s3
	s_mov_b32 s15, s2
	v_pk_add_f32 v[40:41], v[16:17], v[40:41] neg_lo:[0,1] neg_hi:[0,1]
	v_pk_add_f32 v[42:43], v[42:43], v[4:5] neg_lo:[0,1] neg_hi:[0,1]
	s_mov_b32 s18, s17
	s_mov_b32 s19, s16
	v_pk_mul_f32 v[30:31], v[30:31], s[2:3]
	v_pk_mul_f32 v[38:39], v[36:37], s[14:15]
	v_pk_add_f32 v[12:13], v[12:13], v[34:35]
	v_pk_add_f32 v[20:21], v[20:21], v[24:25]
	v_pk_mul_f32 v[24:25], v[40:41], s[16:17]
	v_pk_mul_f32 v[40:41], v[42:43], s[18:19]
	v_mov_b32_e32 v4, v33
	v_mov_b32_e32 v16, v9
	v_pk_add_f32 v[12:13], v[12:13], v[28:29]
	v_pk_add_f32 v[0:1], v[0:1], v[20:21]
	v_pk_add_f32 v[28:29], v[34:35], v[28:29] neg_lo:[0,1] neg_hi:[0,1]
	s_mov_b32 s8, 0xbf5ff5aa
	v_pk_add_f32 v[4:5], v[4:5], v[16:17] neg_lo:[0,1] neg_hi:[0,1]
	s_mov_b32 s10, 0x3f3bfb3b
	v_mov_b32_e32 v8, v40
	v_mov_b32_e32 v9, v25
	;; [unrolled: 1-line block ×4, first 2 shown]
	s_mov_b32 s0, 0xbee1c552
	v_pk_fma_f32 v[20:21], v[20:21], s[20:21], v[0:1] op_sel_hi:[1,0,1] neg_lo:[1,0,0] neg_hi:[1,0,0]
	v_pk_fma_f32 v[8:9], v[4:5], s[10:11], v[8:9] op_sel_hi:[1,0,1] neg_lo:[1,0,1] neg_hi:[1,0,1]
	;; [unrolled: 1-line block ×3, first 2 shown]
	v_pk_add_f32 v[8:9], v[8:9], v[20:21]
	v_pk_fma_f32 v[16:17], v[12:13], s[0:1], v[16:17] op_sel_hi:[1,0,1]
	v_pk_fma_f32 v[42:43], v[42:43], s[18:19], v[24:25]
	v_pk_add_f32 v[32:33], v[8:9], v[16:17]
	v_pk_add_f32 v[8:9], v[8:9], v[16:17] neg_lo:[0,1] neg_hi:[0,1]
	v_pk_fma_f32 v[36:37], v[36:37], s[14:15], v[30:31]
	v_mov_b32_e32 v16, v32
	v_mov_b32_e32 v17, v9
	;; [unrolled: 1-line block ×4, first 2 shown]
	ds_write_b64 v140, v[16:17] offset:2160
	v_pk_fma_f32 v[4:5], v[4:5], s[10:11], v[24:25] op_sel_hi:[1,0,1] neg_lo:[0,0,1] neg_hi:[0,0,1]
	v_pk_fma_f32 v[16:17], v[28:29], s[8:9], v[30:31] op_sel_hi:[1,0,1] neg_lo:[0,0,1] neg_hi:[0,0,1]
	v_pk_mul_f32 v[100:101], v[96:97], v[26:27] op_sel:[0,1] op_sel_hi:[1,0]
	v_pk_fma_f32 v[36:37], v[12:13], s[0:1], v[36:37] op_sel_hi:[1,0,1]
	v_pk_add_f32 v[4:5], v[4:5], v[20:21]
	v_pk_fma_f32 v[12:13], v[12:13], s[0:1], v[16:17] op_sel_hi:[1,0,1]
	v_mov_b32_e32 v62, v97
	v_mov_b32_e32 v90, v101
	v_pk_add_f32 v[16:17], v[4:5], v[12:13] neg_lo:[0,1] neg_hi:[0,1]
	v_pk_add_f32 v[4:5], v[4:5], v[12:13]
	v_pk_mul_f32 v[52:53], v[80:81], v[14:15] op_sel_hi:[1,0]
	v_mov_b32_e32 v54, v15
	v_pk_mul_f32 v[60:61], v[96:97], v[26:27]
	v_pk_mul_f32 v[62:63], v[62:63], v[26:27] op_sel:[0,1] op_sel_hi:[1,0]
	v_pk_fma_f32 v[26:27], v[96:97], v[26:27], v[90:91] op_sel:[0,1,0] op_sel_hi:[1,0,1] neg_lo:[0,0,1] neg_hi:[0,0,1]
	v_mov_b32_e32 v90, v99
	v_pk_mul_f32 v[102:103], v[98:99], v[22:23] op_sel:[0,1] op_sel_hi:[1,0]
	v_mov_b32_e32 v13, v5
	v_mov_b32_e32 v5, v17
	v_mov_b32_e32 v9, v33
	v_pk_mul_f32 v[56:57], v[82:83], v[6:7] op_sel_hi:[1,0]
	v_mov_b32_e32 v58, v7
	v_pk_mul_f32 v[100:101], v[90:91], v[22:23] op_sel:[0,1] op_sel_hi:[1,0]
	v_mov_b32_e32 v90, v103
	ds_write_b64 v140, v[4:5] offset:4320
	ds_write_b64 v140, v[8:9] offset:5400
	v_pk_fma_f32 v[4:5], v[80:81], v[54:55], v[52:53] op_sel:[0,0,1] op_sel_hi:[1,1,0] neg_lo:[0,0,1] neg_hi:[0,0,1]
	v_pk_fma_f32 v[8:9], v[80:81], v[14:15], v[52:53] op_sel:[0,1,1] op_sel_hi:[1,1,0]
	v_pk_mul_f32 v[96:97], v[98:99], v[22:23]
	v_pk_fma_f32 v[22:23], v[98:99], v[22:23], v[90:91] op_sel:[0,1,0] op_sel_hi:[1,0,1] neg_lo:[0,0,1] neg_hi:[0,0,1]
	v_pk_mul_f32 v[98:99], v[84:85], v[18:19] op_sel_hi:[1,0]
	v_mov_b32_e32 v90, v19
	v_mov_b32_e32 v12, v16
	;; [unrolled: 1-line block ×3, first 2 shown]
	v_pk_fma_f32 v[8:9], v[82:83], v[58:59], v[56:57] op_sel:[0,0,1] op_sel_hi:[1,1,0] neg_lo:[0,0,1] neg_hi:[0,0,1]
	v_pk_fma_f32 v[6:7], v[82:83], v[6:7], v[56:57] op_sel:[0,1,1] op_sel_hi:[1,1,0]
	v_pk_mul_f32 v[102:103], v[86:87], v[10:11] op_sel_hi:[1,0]
	v_mov_b32_e32 v108, v11
	ds_write_b64 v140, v[12:13] offset:3240
	v_mov_b32_e32 v9, v7
	v_pk_fma_f32 v[6:7], v[84:85], v[90:91], v[98:99] op_sel:[0,0,1] op_sel_hi:[1,1,0] neg_lo:[0,0,1] neg_hi:[0,0,1]
	v_pk_fma_f32 v[12:13], v[84:85], v[18:19], v[98:99] op_sel:[0,1,1] op_sel_hi:[1,1,0]
	v_pk_fma_f32 v[10:11], v[86:87], v[10:11], v[102:103] op_sel:[0,1,1] op_sel_hi:[1,1,0]
	v_mov_b32_e32 v7, v13
	v_pk_fma_f32 v[12:13], v[86:87], v[108:109], v[102:103] op_sel:[0,0,1] op_sel_hi:[1,1,0] neg_lo:[0,0,1] neg_hi:[0,0,1]
	v_mov_b32_e32 v97, v4
	v_mov_b32_e32 v13, v11
	;; [unrolled: 1-line block ×5, first 2 shown]
	v_pk_add_f32 v[10:11], v[4:5], v[12:13]
	v_pk_add_f32 v[14:15], v[4:5], v[12:13] neg_lo:[0,1] neg_hi:[0,1]
	v_pk_add_f32 v[16:17], v[8:9], v[6:7]
	v_pk_add_f32 v[18:19], v[8:9], v[6:7] neg_lo:[0,1] neg_hi:[0,1]
	v_pk_add_f32 v[4:5], v[96:97], v[100:101]
	v_pk_add_f32 v[6:7], v[60:61], v[62:63]
	v_mov_b32_e32 v23, v4
	v_mov_b32_e32 v27, v6
	v_pk_add_f32 v[8:9], v[22:23], v[26:27] neg_lo:[0,1] neg_hi:[0,1]
	v_mov_b32_e32 v28, v17
	v_mov_b32_e32 v29, v26
	;; [unrolled: 1-line block ×4, first 2 shown]
	v_pk_add_f32 v[22:23], v[28:29], v[26:27]
	v_pk_add_f32 v[26:27], v[6:7], v[4:5]
	;; [unrolled: 1-line block ×3, first 2 shown]
	v_mov_b32_e32 v12, v8
	v_mov_b32_e32 v13, v15
	;; [unrolled: 1-line block ×6, first 2 shown]
	v_pk_add_f32 v[12:13], v[12:13], v[20:21] neg_lo:[0,1] neg_hi:[0,1]
	v_mov_b32_e32 v20, v14
	v_mov_b32_e32 v24, v8
	;; [unrolled: 1-line block ×3, first 2 shown]
	v_pk_add_f32 v[28:29], v[4:5], v[28:29] neg_lo:[0,1] neg_hi:[0,1]
	v_mov_b32_e32 v30, v11
	v_mov_b32_e32 v31, v23
	;; [unrolled: 1-line block ×3, first 2 shown]
	v_pk_add_f32 v[22:23], v[22:23], v[26:27]
	v_pk_mul_f32 v[12:13], v[12:13], s[2:3]
	v_pk_add_f32 v[20:21], v[20:21], v[24:25] neg_lo:[0,1] neg_hi:[0,1]
	v_pk_add_f32 v[8:9], v[8:9], v[18:19]
	v_pk_add_f32 v[30:31], v[30:31], v[6:7] neg_lo:[0,1] neg_hi:[0,1]
	v_pk_add_f32 v[2:3], v[2:3], v[22:23]
	v_pk_mul_f32 v[26:27], v[28:29], s[16:17]
	v_pk_mul_f32 v[24:25], v[20:21], s[14:15]
	v_pk_add_f32 v[8:9], v[8:9], v[14:15]
	v_pk_mul_f32 v[28:29], v[30:31], s[18:19]
	v_pk_fma_f32 v[22:23], v[22:23], s[20:21], v[2:3] op_sel_hi:[1,0,1] neg_lo:[1,0,0] neg_hi:[1,0,0]
	v_pk_fma_f32 v[30:31], v[30:31], s[18:19], v[26:27]
	v_pk_fma_f32 v[20:21], v[20:21], s[14:15], v[12:13]
	v_pk_add_f32 v[44:45], v[42:43], v[36:37]
	v_pk_add_f32 v[36:37], v[42:43], v[36:37] neg_lo:[0,1] neg_hi:[0,1]
	v_pk_add_f32 v[30:31], v[30:31], v[22:23]
	v_pk_fma_f32 v[20:21], v[8:9], s[0:1], v[20:21] op_sel_hi:[1,0,1]
	v_mov_b32_e32 v42, v44
	v_mov_b32_e32 v43, v37
	v_mov_b32_e32 v37, v45
	v_pk_add_f32 v[32:33], v[30:31], v[20:21]
	v_pk_add_f32 v[20:21], v[30:31], v[20:21] neg_lo:[0,1] neg_hi:[0,1]
	ds_write_b64 v140, v[42:43] offset:1080
	ds_write_b64 v140, v[36:37] offset:6480
	ds_write2_b64 v140, v[0:1], v[2:3] offset1:63
	v_mov_b32_e32 v0, v32
	v_mov_b32_e32 v1, v21
	;; [unrolled: 1-line block ×4, first 2 shown]
	ds_write_b64 v140, v[0:1] offset:1584
	v_pk_add_f32 v[0:1], v[18:19], v[14:15] neg_lo:[0,1] neg_hi:[0,1]
	v_pk_add_f32 v[2:3], v[6:7], v[4:5] neg_lo:[0,1] neg_hi:[0,1]
	v_mov_b32_e32 v4, v28
	v_mov_b32_e32 v5, v27
	;; [unrolled: 1-line block ×4, first 2 shown]
	v_pk_fma_f32 v[4:5], v[2:3], s[10:11], v[4:5] op_sel_hi:[1,0,1] neg_lo:[1,0,1] neg_hi:[1,0,1]
	v_pk_fma_f32 v[6:7], v[0:1], s[8:9], v[6:7] op_sel_hi:[1,0,1] neg_lo:[1,0,1] neg_hi:[1,0,1]
	v_pk_add_f32 v[4:5], v[4:5], v[22:23]
	v_pk_fma_f32 v[6:7], v[8:9], s[0:1], v[6:7] op_sel_hi:[1,0,1]
	v_mov_b32_e32 v27, v29
	v_mov_b32_e32 v13, v25
	v_pk_add_f32 v[10:11], v[4:5], v[6:7]
	v_pk_add_f32 v[4:5], v[4:5], v[6:7] neg_lo:[0,1] neg_hi:[0,1]
	v_pk_fma_f32 v[2:3], v[2:3], s[10:11], v[26:27] op_sel_hi:[1,0,1] neg_lo:[0,0,1] neg_hi:[0,0,1]
	v_pk_fma_f32 v[0:1], v[0:1], s[8:9], v[12:13] op_sel_hi:[1,0,1] neg_lo:[0,0,1] neg_hi:[0,0,1]
	v_mov_b32_e32 v6, v10
	v_mov_b32_e32 v7, v5
	v_pk_add_f32 v[2:3], v[2:3], v[22:23]
	v_pk_fma_f32 v[0:1], v[8:9], s[0:1], v[0:1] op_sel_hi:[1,0,1]
	ds_write_b64 v140, v[6:7] offset:2664
	v_pk_add_f32 v[6:7], v[2:3], v[0:1] neg_lo:[0,1] neg_hi:[0,1]
	v_pk_add_f32 v[0:1], v[2:3], v[0:1]
	v_mov_b32_e32 v2, v6
	v_mov_b32_e32 v3, v1
	v_mov_b32_e32 v1, v7
	v_mov_b32_e32 v5, v11
	v_mov_b32_e32 v21, v33
	ds_write_b64 v140, v[2:3] offset:3744
	ds_write_b64 v140, v[0:1] offset:4824
	;; [unrolled: 1-line block ×4, first 2 shown]
	s_and_saveexec_b64 s[20:21], vcc
	s_cbranch_execz .LBB0_9
; %bb.8:
	v_pk_mul_f32 v[0:1], v[68:69], v[106:107] op_sel_hi:[1,0]
	v_mov_b32_e32 v2, v91
	v_mov_b32_e32 v4, v91
	v_pk_mul_f32 v[6:7], v[74:75], v[118:119] op_sel_hi:[1,0]
	v_pk_mul_f32 v[20:21], v[72:73], v[110:111] op_sel:[0,1]
	v_pk_fma_f32 v[2:3], v[68:69], v[2:3], v[0:1] op_sel:[0,0,1] op_sel_hi:[1,1,0] neg_lo:[0,0,1] neg_hi:[0,0,1]
	v_pk_fma_f32 v[0:1], v[68:69], v[4:5], v[0:1] op_sel:[0,0,1] op_sel_hi:[1,0,0]
	v_mov_b32_e32 v10, v89
	v_mov_b32_e32 v14, v77
	v_pk_mul_f32 v[18:19], v[70:71], v[122:123] op_sel_hi:[1,0]
	v_pk_fma_f32 v[24:25], v[74:75], v[122:123], v[6:7] op_sel:[0,1,1] op_sel_hi:[1,1,0] neg_lo:[0,0,1] neg_hi:[0,0,1]
	v_pk_fma_f32 v[6:7], v[74:75], v[122:123], v[6:7] op_sel:[0,1,1] op_sel_hi:[1,1,0]
	v_mov_b32_e32 v3, v1
	v_pk_fma_f32 v[0:1], v[72:73], v[120:121], v[20:21] op_sel:[0,1,1] op_sel_hi:[1,1,0] neg_lo:[0,0,1] neg_hi:[0,0,1]
	v_pk_fma_f32 v[4:5], v[72:73], v[120:121], v[20:21] op_sel:[0,1,1] op_sel_hi:[1,1,0]
	v_pk_mul_f32 v[8:9], v[78:79], v[88:89]
	v_pk_mul_f32 v[10:11], v[116:117], v[10:11]
	v_pk_mul_f32 v[12:13], v[76:77], v[110:111]
	v_pk_mul_f32 v[16:17], v[14:15], v[120:121]
	v_pk_mul_f32 v[22:23], v[116:117], v[88:89]
	v_mov_b32_e32 v25, v7
	v_mov_b32_e32 v1, v5
	v_pk_fma_f32 v[4:5], v[70:71], v[118:119], v[18:19] op_sel:[0,1,1] op_sel_hi:[1,1,0] neg_lo:[0,0,1] neg_hi:[0,0,1]
	v_pk_fma_f32 v[6:7], v[70:71], v[118:119], v[18:19] op_sel:[0,1,1] op_sel_hi:[1,1,0]
	v_pk_mul_f32 v[14:15], v[14:15], v[110:111]
	v_mov_b32_e32 v22, v23
	v_mov_b32_e32 v5, v7
	;; [unrolled: 1-line block ×6, first 2 shown]
	v_pk_fma_f32 v[14:15], v[76:77], v[120:121], v[14:15] neg_lo:[0,0,1] neg_hi:[0,0,1]
	v_pk_fma_f32 v[22:23], v[116:117], v[88:89], v[22:23] neg_lo:[1,0,0] neg_hi:[1,0,0]
	v_pk_add_f32 v[6:7], v[24:25], v[2:3]
	v_pk_add_f32 v[18:19], v[0:1], v[4:5]
	v_pk_add_f32 v[20:21], v[2:3], v[24:25] neg_lo:[0,1] neg_hi:[0,1]
	v_pk_add_f32 v[26:27], v[4:5], v[0:1] neg_lo:[0,1] neg_hi:[0,1]
	v_pk_add_f32 v[2:3], v[8:9], v[10:11]
	v_pk_add_f32 v[0:1], v[12:13], v[16:17]
	v_mov_b32_e32 v23, v2
	v_mov_b32_e32 v15, v0
	v_pk_add_f32 v[4:5], v[22:23], v[14:15] neg_lo:[0,1] neg_hi:[0,1]
	v_mov_b32_e32 v17, v21
	v_mov_b32_e32 v10, v4
	v_pk_add_f32 v[12:13], v[4:5], v[26:27]
	v_mov_b32_e32 v16, v4
	v_mov_b32_e32 v4, v26
	;; [unrolled: 1-line block ×3, first 2 shown]
	v_pk_add_f32 v[4:5], v[16:17], v[4:5] neg_lo:[0,1] neg_hi:[0,1]
	v_mov_b32_e32 v16, v19
	v_mov_b32_e32 v17, v14
	;; [unrolled: 1-line block ×4, first 2 shown]
	v_pk_add_f32 v[14:15], v[16:17], v[14:15]
	v_pk_add_f32 v[16:17], v[0:1], v[2:3]
	v_mov_b32_e32 v8, v20
	v_pk_add_f32 v[22:23], v[14:15], v[16:17]
	v_mov_b32_e32 v14, v7
	v_mov_b32_e32 v17, v1
	v_pk_add_f32 v[28:29], v[14:15], v[16:17] neg_lo:[0,1] neg_hi:[0,1]
	v_mov_b32_e32 v17, v3
	v_mov_b32_e32 v14, v19
	;; [unrolled: 1-line block ×3, first 2 shown]
	v_pk_add_f32 v[14:15], v[16:17], v[14:15] neg_lo:[0,1] neg_hi:[0,1]
	v_pk_add_f32 v[8:9], v[8:9], v[10:11] neg_lo:[0,1] neg_hi:[0,1]
	v_pk_mul_f32 v[4:5], v[4:5], s[2:3]
	v_pk_add_f32 v[24:25], v[104:105], v[22:23]
	v_pk_mul_f32 v[14:15], v[14:15], s[16:17]
	s_mov_b32 s2, 0xbf955555
	v_pk_mul_f32 v[10:11], v[8:9], s[14:15]
	v_pk_add_f32 v[12:13], v[12:13], v[20:21]
	v_pk_fma_f32 v[8:9], v[8:9], s[14:15], v[4:5]
	v_pk_fma_f32 v[16:17], v[28:29], s[18:19], v[14:15]
	v_pk_fma_f32 v[22:23], v[22:23], s[2:3], v[24:25] op_sel_hi:[1,0,1]
	v_pk_fma_f32 v[8:9], v[12:13], s[0:1], v[8:9] op_sel_hi:[1,0,1]
	v_pk_add_f32 v[16:17], v[16:17], v[22:23]
	v_pk_mul_f32 v[30:31], v[28:29], s[18:19]
	v_pk_add_f32 v[28:29], v[16:17], v[8:9]
	v_pk_add_f32 v[8:9], v[16:17], v[8:9] neg_lo:[0,1] neg_hi:[0,1]
	v_mov_b32_e32 v16, v28
	v_mov_b32_e32 v17, v9
	v_add_u32_e32 v0, 0x200, v140
	ds_write2_b64 v0, v[24:25], v[16:17] offset0:62 offset1:197
	v_mov_b32_e32 v0, v19
	v_mov_b32_e32 v2, v7
	v_pk_add_f32 v[16:17], v[26:27], v[20:21] neg_lo:[0,1] neg_hi:[0,1]
	v_mov_b32_e32 v20, v10
	v_mov_b32_e32 v21, v5
	v_pk_add_f32 v[0:1], v[0:1], v[2:3] neg_lo:[0,1] neg_hi:[0,1]
	v_mov_b32_e32 v2, v30
	v_mov_b32_e32 v3, v15
	;; [unrolled: 1-line block ×4, first 2 shown]
	v_pk_fma_f32 v[20:21], v[16:17], s[8:9], v[20:21] op_sel_hi:[1,0,1] neg_lo:[1,0,1] neg_hi:[1,0,1]
	v_pk_fma_f32 v[2:3], v[0:1], s[10:11], v[2:3] op_sel_hi:[1,0,1] neg_lo:[1,0,1] neg_hi:[1,0,1]
	v_pk_fma_f32 v[4:5], v[16:17], s[8:9], v[4:5] op_sel_hi:[1,0,1] neg_lo:[0,0,1] neg_hi:[0,0,1]
	v_pk_fma_f32 v[0:1], v[0:1], s[10:11], v[14:15] op_sel_hi:[1,0,1] neg_lo:[0,0,1] neg_hi:[0,0,1]
	v_pk_fma_f32 v[20:21], v[12:13], s[0:1], v[20:21] op_sel_hi:[1,0,1]
	v_pk_add_f32 v[2:3], v[2:3], v[22:23]
	v_pk_fma_f32 v[4:5], v[12:13], s[0:1], v[4:5] op_sel_hi:[1,0,1]
	v_pk_add_f32 v[0:1], v[0:1], v[22:23]
	v_pk_add_f32 v[6:7], v[2:3], v[20:21]
	v_pk_add_f32 v[2:3], v[2:3], v[20:21] neg_lo:[0,1] neg_hi:[0,1]
	v_pk_add_f32 v[10:11], v[0:1], v[4:5] neg_lo:[0,1] neg_hi:[0,1]
	v_pk_add_f32 v[0:1], v[0:1], v[4:5]
	v_mov_b32_e32 v18, v6
	v_mov_b32_e32 v19, v3
	;; [unrolled: 1-line block ×4, first 2 shown]
	v_add_u32_e32 v1, 0xc00, v140
	ds_write2_b64 v1, v[18:19], v[4:5] offset0:12 offset1:147
	v_mov_b32_e32 v1, v11
	v_mov_b32_e32 v3, v7
	v_add_u32_e32 v4, 0x1400, v140
	v_mov_b32_e32 v9, v29
	ds_write2_b64 v4, v[0:1], v[2:3] offset0:26 offset1:161
	ds_write_b64 v140, v[8:9] offset:7488
.LBB0_9:
	s_or_b64 exec, exec, s[20:21]
	s_waitcnt lgkmcnt(0)
	; wave barrier
	s_waitcnt lgkmcnt(0)
	ds_read2_b64 v[0:3], v140 offset1:63
	v_accvgpr_read_b32 v6, a0
	v_mad_u64_u32 v[10:11], s[0:1], s6, v6, 0
	v_mov_b32_e32 v4, v11
	v_mad_u64_u32 v[4:5], s[0:1], s7, v6, v[4:5]
	v_mov_b32_e32 v11, v4
	s_waitcnt lgkmcnt(0)
	v_mul_f32_e32 v4, v175, v1
	v_fmac_f32_e32 v4, v174, v0
	v_mul_f32_e32 v0, v175, v0
	s_mov_b32 s0, 0xbc011567
	v_fma_f32 v0, v174, v1, -v0
	s_mov_b32 s1, 0x3f51566a
	v_cvt_f64_f32_e32 v[0:1], v0
	v_cvt_f64_f32_e32 v[4:5], v4
	v_mul_f64 v[0:1], v[0:1], s[0:1]
	v_mul_f64 v[4:5], v[4:5], s[0:1]
	v_cvt_f32_f64_e32 v13, v[0:1]
	v_mad_u64_u32 v[0:1], s[2:3], s4, v166, 0
	v_cvt_f32_f64_e32 v12, v[4:5]
	v_mov_b32_e32 v4, v1
	v_add_u32_e32 v1, 0x400, v140
	v_mad_u64_u32 v[14:15], s[2:3], s5, v166, v[4:5]
	ds_read2_b64 v[4:7], v1 offset0:124 offset1:187
	v_mov_b32_e32 v8, s12
	v_mov_b32_e32 v9, s13
	;; [unrolled: 1-line block ×3, first 2 shown]
	v_lshl_add_u64 v[8:9], v[10:11], 3, v[8:9]
	v_lshl_add_u64 v[0:1], v[0:1], 3, v[8:9]
	s_waitcnt lgkmcnt(0)
	v_mul_f32_e32 v8, v173, v7
	v_fmac_f32_e32 v8, v172, v6
	v_mul_f32_e32 v6, v173, v6
	v_fma_f32 v6, v172, v7, -v6
	v_cvt_f64_f32_e32 v[6:7], v6
	v_cvt_f64_f32_e32 v[8:9], v8
	v_mul_f64 v[6:7], v[6:7], s[0:1]
	v_mul_f64 v[8:9], v[8:9], s[0:1]
	v_cvt_f32_f64_e32 v11, v[6:7]
	v_add_u32_e32 v6, 0x1000, v140
	v_cvt_f32_f64_e32 v10, v[8:9]
	ds_read2_b64 v[6:9], v6 offset0:118 offset1:181
	global_store_dwordx2 v[0:1], v[12:13], off
	v_mov_b32_e32 v12, 0x9d8
	v_mad_u64_u32 v[0:1], s[2:3], s4, v12, v[0:1]
	s_mul_i32 s2, s5, 0x9d8
	s_nop 0
	v_add_u32_e32 v1, s2, v1
	global_store_dwordx2 v[0:1], v[10:11], off
	s_waitcnt lgkmcnt(0)
	v_mul_f32_e32 v10, v169, v7
	v_fmac_f32_e32 v10, v168, v6
	v_mul_f32_e32 v6, v169, v6
	v_fma_f32 v6, v168, v7, -v6
	v_cvt_f64_f32_e32 v[10:11], v10
	v_cvt_f64_f32_e32 v[6:7], v6
	v_mul_f64 v[10:11], v[10:11], s[0:1]
	v_mul_f64 v[6:7], v[6:7], s[0:1]
	v_cvt_f32_f64_e32 v10, v[10:11]
	v_cvt_f32_f64_e32 v11, v[6:7]
	v_mul_f32_e32 v6, v171, v3
	v_fmac_f32_e32 v6, v170, v2
	v_mul_f32_e32 v2, v171, v2
	v_mad_u64_u32 v[0:1], s[6:7], s4, v12, v[0:1]
	v_fma_f32 v2, v170, v3, -v2
	v_add_u32_e32 v1, s2, v1
	v_cvt_f64_f32_e32 v[6:7], v6
	v_cvt_f64_f32_e32 v[2:3], v2
	v_mov_b32_e32 v13, 0xffffee48
	global_store_dwordx2 v[0:1], v[10:11], off
	v_mul_f64 v[6:7], v[6:7], s[0:1]
	v_mul_f64 v[2:3], v[2:3], s[0:1]
	v_mad_u64_u32 v[10:11], s[6:7], s4, v13, v[0:1]
	v_add_u32_e32 v0, 0x800, v140
	v_cvt_f32_f64_e32 v6, v[6:7]
	v_cvt_f32_f64_e32 v7, v[2:3]
	ds_read2_b64 v[0:3], v0 offset0:122 offset1:185
	s_mul_i32 s3, s5, 0xffffee48
	s_sub_i32 s3, s3, s4
	v_add_u32_e32 v11, s3, v11
	global_store_dwordx2 v[10:11], v[6:7], off
	s_waitcnt lgkmcnt(0)
	v_mul_f32_e32 v6, v163, v1
	v_fmac_f32_e32 v6, v162, v0
	v_mul_f32_e32 v0, v163, v0
	v_fma_f32 v0, v162, v1, -v0
	v_cvt_f64_f32_e32 v[6:7], v6
	v_cvt_f64_f32_e32 v[0:1], v0
	v_mul_f64 v[6:7], v[6:7], s[0:1]
	v_mul_f64 v[0:1], v[0:1], s[0:1]
	v_cvt_f32_f64_e32 v6, v[6:7]
	v_cvt_f32_f64_e32 v7, v[0:1]
	v_mad_u64_u32 v[0:1], s[6:7], s4, v12, v[10:11]
	v_add_u32_e32 v1, s2, v1
	global_store_dwordx2 v[0:1], v[6:7], off
	v_mul_f32_e32 v6, v161, v9
	v_fmac_f32_e32 v6, v160, v8
	v_cvt_f64_f32_e32 v[6:7], v6
	v_mul_f64 v[6:7], v[6:7], s[0:1]
	v_cvt_f32_f64_e32 v10, v[6:7]
	v_mul_f32_e32 v6, v161, v8
	v_fma_f32 v6, v160, v9, -v6
	v_cvt_f64_f32_e32 v[6:7], v6
	v_mul_f64 v[6:7], v[6:7], s[0:1]
	v_cvt_f32_f64_e32 v11, v[6:7]
	ds_read2_b64 v[6:9], v140 offset0:126 offset1:189
	v_mad_u64_u32 v[0:1], s[6:7], s4, v12, v[0:1]
	v_add_u32_e32 v1, s2, v1
	global_store_dwordx2 v[0:1], v[10:11], off
	s_waitcnt lgkmcnt(0)
	v_mul_f32_e32 v10, v159, v7
	v_fmac_f32_e32 v10, v158, v6
	v_mul_f32_e32 v6, v159, v6
	v_fma_f32 v6, v158, v7, -v6
	v_cvt_f64_f32_e32 v[10:11], v10
	v_cvt_f64_f32_e32 v[6:7], v6
	v_mul_f64 v[10:11], v[10:11], s[0:1]
	v_mul_f64 v[6:7], v[6:7], s[0:1]
	v_cvt_f32_f64_e32 v10, v[10:11]
	v_cvt_f32_f64_e32 v11, v[6:7]
	v_mad_u64_u32 v[6:7], s[6:7], s4, v13, v[0:1]
	v_mul_f32_e32 v0, v157, v3
	v_fmac_f32_e32 v0, v156, v2
	v_cvt_f64_f32_e32 v[0:1], v0
	v_add_u32_e32 v7, s3, v7
	v_mul_f64 v[0:1], v[0:1], s[0:1]
	global_store_dwordx2 v[6:7], v[10:11], off
	v_cvt_f32_f64_e32 v10, v[0:1]
	v_mul_f32_e32 v0, v157, v2
	v_fma_f32 v0, v156, v3, -v0
	v_cvt_f64_f32_e32 v[0:1], v0
	v_mul_f64 v[0:1], v[0:1], s[0:1]
	v_cvt_f32_f64_e32 v11, v[0:1]
	v_add_u32_e32 v0, 0x1400, v140
	ds_read2_b64 v[0:3], v0 offset0:116 offset1:179
	v_mad_u64_u32 v[6:7], s[6:7], s4, v12, v[6:7]
	v_add_u32_e32 v7, s2, v7
	global_store_dwordx2 v[6:7], v[10:11], off
	s_waitcnt lgkmcnt(0)
	v_mul_f32_e32 v10, v155, v1
	v_fmac_f32_e32 v10, v154, v0
	v_mul_f32_e32 v0, v155, v0
	v_fma_f32 v0, v154, v1, -v0
	v_cvt_f64_f32_e32 v[10:11], v10
	v_cvt_f64_f32_e32 v[0:1], v0
	v_mul_f64 v[10:11], v[10:11], s[0:1]
	v_mul_f64 v[0:1], v[0:1], s[0:1]
	v_cvt_f32_f64_e32 v10, v[10:11]
	v_cvt_f32_f64_e32 v11, v[0:1]
	v_mad_u64_u32 v[0:1], s[6:7], s4, v12, v[6:7]
	v_mul_f32_e32 v6, v153, v9
	v_fmac_f32_e32 v6, v152, v8
	v_cvt_f64_f32_e32 v[6:7], v6
	v_add_u32_e32 v1, s2, v1
	v_mul_f64 v[6:7], v[6:7], s[0:1]
	global_store_dwordx2 v[0:1], v[10:11], off
	v_cvt_f32_f64_e32 v10, v[6:7]
	v_mul_f32_e32 v6, v153, v8
	v_fma_f32 v6, v152, v9, -v6
	v_cvt_f64_f32_e32 v[6:7], v6
	v_mul_f64 v[6:7], v[6:7], s[0:1]
	v_cvt_f32_f64_e32 v11, v[6:7]
	v_add_u32_e32 v6, 0xc00, v140
	ds_read2_b64 v[6:9], v6 offset0:120 offset1:183
	v_mad_u64_u32 v[0:1], s[6:7], s4, v13, v[0:1]
	v_add_u32_e32 v1, s3, v1
	global_store_dwordx2 v[0:1], v[10:11], off
	s_waitcnt lgkmcnt(0)
	v_mul_f32_e32 v10, v151, v7
	v_fmac_f32_e32 v10, v150, v6
	v_mul_f32_e32 v6, v151, v6
	v_fma_f32 v6, v150, v7, -v6
	v_cvt_f64_f32_e32 v[10:11], v10
	v_cvt_f64_f32_e32 v[6:7], v6
	v_mul_f64 v[10:11], v[10:11], s[0:1]
	v_mul_f64 v[6:7], v[6:7], s[0:1]
	v_cvt_f32_f64_e32 v10, v[10:11]
	v_cvt_f32_f64_e32 v11, v[6:7]
	v_mul_f32_e32 v6, v149, v3
	v_fmac_f32_e32 v6, v148, v2
	v_mul_f32_e32 v2, v149, v2
	v_fma_f32 v2, v148, v3, -v2
	v_cvt_f64_f32_e32 v[6:7], v6
	v_cvt_f64_f32_e32 v[2:3], v2
	v_mul_f64 v[6:7], v[6:7], s[0:1]
	v_mul_f64 v[2:3], v[2:3], s[0:1]
	v_cvt_f32_f64_e32 v6, v[6:7]
	v_cvt_f32_f64_e32 v7, v[2:3]
	v_mul_f32_e32 v2, v147, v5
	v_fmac_f32_e32 v2, v146, v4
	v_cvt_f64_f32_e32 v[2:3], v2
	v_mad_u64_u32 v[0:1], s[6:7], s4, v12, v[0:1]
	v_mul_f64 v[2:3], v[2:3], s[0:1]
	v_add_u32_e32 v1, s2, v1
	v_cvt_f32_f64_e32 v2, v[2:3]
	v_mul_f32_e32 v3, v147, v4
	global_store_dwordx2 v[0:1], v[10:11], off
	v_mad_u64_u32 v[0:1], s[6:7], s4, v12, v[0:1]
	v_fma_f32 v3, v146, v5, -v3
	v_add_u32_e32 v1, s2, v1
	v_cvt_f64_f32_e32 v[4:5], v3
	global_store_dwordx2 v[0:1], v[6:7], off
	v_mul_f64 v[4:5], v[4:5], s[0:1]
	v_mad_u64_u32 v[0:1], s[6:7], s4, v13, v[0:1]
	v_cvt_f32_f64_e32 v3, v[4:5]
	v_add_u32_e32 v1, s3, v1
	global_store_dwordx2 v[0:1], v[2:3], off
	v_mul_f32_e32 v2, v145, v9
	v_fmac_f32_e32 v2, v144, v8
	v_cvt_f64_f32_e32 v[2:3], v2
	v_mul_f64 v[2:3], v[2:3], s[0:1]
	v_cvt_f32_f64_e32 v2, v[2:3]
	v_mul_f32_e32 v3, v145, v8
	v_fma_f32 v3, v144, v9, -v3
	v_cvt_f64_f32_e32 v[4:5], v3
	v_mul_f64 v[4:5], v[4:5], s[0:1]
	v_cvt_f32_f64_e32 v3, v[4:5]
	ds_read_b64 v[4:5], v140 offset:7056
	v_mad_u64_u32 v[0:1], s[6:7], s4, v12, v[0:1]
	v_add_u32_e32 v1, s2, v1
	global_store_dwordx2 v[0:1], v[2:3], off
	s_waitcnt lgkmcnt(0)
	v_mul_f32_e32 v2, v143, v5
	v_fmac_f32_e32 v2, v142, v4
	v_cvt_f64_f32_e32 v[2:3], v2
	v_mul_f64 v[2:3], v[2:3], s[0:1]
	v_cvt_f32_f64_e32 v2, v[2:3]
	v_mul_f32_e32 v3, v143, v4
	v_fma_f32 v3, v142, v5, -v3
	v_cvt_f64_f32_e32 v[4:5], v3
	v_mul_f64 v[4:5], v[4:5], s[0:1]
	v_mad_u64_u32 v[0:1], s[0:1], s4, v12, v[0:1]
	v_cvt_f32_f64_e32 v3, v[4:5]
	v_add_u32_e32 v1, s2, v1
	global_store_dwordx2 v[0:1], v[2:3], off
.LBB0_10:
	s_endpgm
	.section	.rodata,"a",@progbits
	.p2align	6, 0x0
	.amdhsa_kernel bluestein_single_fwd_len945_dim1_sp_op_CI_CI
		.amdhsa_group_segment_fixed_size 7560
		.amdhsa_private_segment_fixed_size 0
		.amdhsa_kernarg_size 104
		.amdhsa_user_sgpr_count 2
		.amdhsa_user_sgpr_dispatch_ptr 0
		.amdhsa_user_sgpr_queue_ptr 0
		.amdhsa_user_sgpr_kernarg_segment_ptr 1
		.amdhsa_user_sgpr_dispatch_id 0
		.amdhsa_user_sgpr_kernarg_preload_length 0
		.amdhsa_user_sgpr_kernarg_preload_offset 0
		.amdhsa_user_sgpr_private_segment_size 0
		.amdhsa_uses_dynamic_stack 0
		.amdhsa_enable_private_segment 0
		.amdhsa_system_sgpr_workgroup_id_x 1
		.amdhsa_system_sgpr_workgroup_id_y 0
		.amdhsa_system_sgpr_workgroup_id_z 0
		.amdhsa_system_sgpr_workgroup_info 0
		.amdhsa_system_vgpr_workitem_id 0
		.amdhsa_next_free_vgpr 292
		.amdhsa_next_free_sgpr 26
		.amdhsa_accum_offset 256
		.amdhsa_reserve_vcc 1
		.amdhsa_float_round_mode_32 0
		.amdhsa_float_round_mode_16_64 0
		.amdhsa_float_denorm_mode_32 3
		.amdhsa_float_denorm_mode_16_64 3
		.amdhsa_dx10_clamp 1
		.amdhsa_ieee_mode 1
		.amdhsa_fp16_overflow 0
		.amdhsa_tg_split 0
		.amdhsa_exception_fp_ieee_invalid_op 0
		.amdhsa_exception_fp_denorm_src 0
		.amdhsa_exception_fp_ieee_div_zero 0
		.amdhsa_exception_fp_ieee_overflow 0
		.amdhsa_exception_fp_ieee_underflow 0
		.amdhsa_exception_fp_ieee_inexact 0
		.amdhsa_exception_int_div_zero 0
	.end_amdhsa_kernel
	.text
.Lfunc_end0:
	.size	bluestein_single_fwd_len945_dim1_sp_op_CI_CI, .Lfunc_end0-bluestein_single_fwd_len945_dim1_sp_op_CI_CI
                                        ; -- End function
	.section	.AMDGPU.csdata,"",@progbits
; Kernel info:
; codeLenInByte = 17496
; NumSgprs: 32
; NumVgprs: 256
; NumAgprs: 36
; TotalNumVgprs: 292
; ScratchSize: 0
; MemoryBound: 0
; FloatMode: 240
; IeeeMode: 1
; LDSByteSize: 7560 bytes/workgroup (compile time only)
; SGPRBlocks: 3
; VGPRBlocks: 36
; NumSGPRsForWavesPerEU: 32
; NumVGPRsForWavesPerEU: 292
; AccumOffset: 256
; Occupancy: 1
; WaveLimiterHint : 1
; COMPUTE_PGM_RSRC2:SCRATCH_EN: 0
; COMPUTE_PGM_RSRC2:USER_SGPR: 2
; COMPUTE_PGM_RSRC2:TRAP_HANDLER: 0
; COMPUTE_PGM_RSRC2:TGID_X_EN: 1
; COMPUTE_PGM_RSRC2:TGID_Y_EN: 0
; COMPUTE_PGM_RSRC2:TGID_Z_EN: 0
; COMPUTE_PGM_RSRC2:TIDIG_COMP_CNT: 0
; COMPUTE_PGM_RSRC3_GFX90A:ACCUM_OFFSET: 63
; COMPUTE_PGM_RSRC3_GFX90A:TG_SPLIT: 0
	.text
	.p2alignl 6, 3212836864
	.fill 256, 4, 3212836864
	.type	__hip_cuid_7270895d4cccf658,@object ; @__hip_cuid_7270895d4cccf658
	.section	.bss,"aw",@nobits
	.globl	__hip_cuid_7270895d4cccf658
__hip_cuid_7270895d4cccf658:
	.byte	0                               ; 0x0
	.size	__hip_cuid_7270895d4cccf658, 1

	.ident	"AMD clang version 19.0.0git (https://github.com/RadeonOpenCompute/llvm-project roc-6.4.0 25133 c7fe45cf4b819c5991fe208aaa96edf142730f1d)"
	.section	".note.GNU-stack","",@progbits
	.addrsig
	.addrsig_sym __hip_cuid_7270895d4cccf658
	.amdgpu_metadata
---
amdhsa.kernels:
  - .agpr_count:     36
    .args:
      - .actual_access:  read_only
        .address_space:  global
        .offset:         0
        .size:           8
        .value_kind:     global_buffer
      - .actual_access:  read_only
        .address_space:  global
        .offset:         8
        .size:           8
        .value_kind:     global_buffer
      - .actual_access:  read_only
        .address_space:  global
        .offset:         16
        .size:           8
        .value_kind:     global_buffer
      - .actual_access:  read_only
        .address_space:  global
        .offset:         24
        .size:           8
        .value_kind:     global_buffer
      - .actual_access:  read_only
        .address_space:  global
        .offset:         32
        .size:           8
        .value_kind:     global_buffer
      - .offset:         40
        .size:           8
        .value_kind:     by_value
      - .address_space:  global
        .offset:         48
        .size:           8
        .value_kind:     global_buffer
      - .address_space:  global
        .offset:         56
        .size:           8
        .value_kind:     global_buffer
      - .address_space:  global
        .offset:         64
        .size:           8
        .value_kind:     global_buffer
      - .address_space:  global
        .offset:         72
        .size:           8
        .value_kind:     global_buffer
      - .offset:         80
        .size:           4
        .value_kind:     by_value
      - .address_space:  global
        .offset:         88
        .size:           8
        .value_kind:     global_buffer
      - .address_space:  global
        .offset:         96
        .size:           8
        .value_kind:     global_buffer
    .group_segment_fixed_size: 7560
    .kernarg_segment_align: 8
    .kernarg_segment_size: 104
    .language:       OpenCL C
    .language_version:
      - 2
      - 0
    .max_flat_workgroup_size: 63
    .name:           bluestein_single_fwd_len945_dim1_sp_op_CI_CI
    .private_segment_fixed_size: 0
    .sgpr_count:     32
    .sgpr_spill_count: 0
    .symbol:         bluestein_single_fwd_len945_dim1_sp_op_CI_CI.kd
    .uniform_work_group_size: 1
    .uses_dynamic_stack: false
    .vgpr_count:     292
    .vgpr_spill_count: 0
    .wavefront_size: 64
amdhsa.target:   amdgcn-amd-amdhsa--gfx950
amdhsa.version:
  - 1
  - 2
...

	.end_amdgpu_metadata
